;; amdgpu-corpus repo=ROCm/rocSOLVER kind=compiled arch=gfx906 opt=O3
	.amdgcn_target "amdgcn-amd-amdhsa--gfx906"
	.amdhsa_code_object_version 6
	.section	.text._ZN9rocsolver6v33100L10ger_kernelI19rocblas_complex_numIdEiPKS3_PS3_S6_S6_EEvT0_S7_T1_lT2_lS7_lT3_lS7_lT4_lS7_S7_l,"axG",@progbits,_ZN9rocsolver6v33100L10ger_kernelI19rocblas_complex_numIdEiPKS3_PS3_S6_S6_EEvT0_S7_T1_lT2_lS7_lT3_lS7_lT4_lS7_S7_l,comdat
	.globl	_ZN9rocsolver6v33100L10ger_kernelI19rocblas_complex_numIdEiPKS3_PS3_S6_S6_EEvT0_S7_T1_lT2_lS7_lT3_lS7_lT4_lS7_S7_l ; -- Begin function _ZN9rocsolver6v33100L10ger_kernelI19rocblas_complex_numIdEiPKS3_PS3_S6_S6_EEvT0_S7_T1_lT2_lS7_lT3_lS7_lT4_lS7_S7_l
	.p2align	8
	.type	_ZN9rocsolver6v33100L10ger_kernelI19rocblas_complex_numIdEiPKS3_PS3_S6_S6_EEvT0_S7_T1_lT2_lS7_lT3_lS7_lT4_lS7_S7_l,@function
_ZN9rocsolver6v33100L10ger_kernelI19rocblas_complex_numIdEiPKS3_PS3_S6_S6_EEvT0_S7_T1_lT2_lS7_lT3_lS7_lT4_lS7_S7_l: ; @_ZN9rocsolver6v33100L10ger_kernelI19rocblas_complex_numIdEiPKS3_PS3_S6_S6_EEvT0_S7_T1_lT2_lS7_lT3_lS7_lT4_lS7_S7_l
; %bb.0:
	s_load_dword s2, s[4:5], 0x84
	s_load_dwordx2 s[0:1], s[4:5], 0x0
	s_waitcnt lgkmcnt(0)
	s_lshr_b32 s3, s2, 16
	s_and_b32 s2, s2, 0xffff
	s_mul_i32 s6, s6, s2
	s_mul_i32 s7, s7, s3
	v_add_u32_e32 v2, s6, v0
	v_add_u32_e32 v0, s7, v1
	v_cmp_gt_i32_e32 vcc, s0, v2
	v_cmp_gt_i32_e64 s[0:1], s1, v0
	s_and_b64 s[0:1], vcc, s[0:1]
	s_and_saveexec_b64 s[2:3], s[0:1]
	s_cbranch_execz .LBB0_2
; %bb.1:
	s_load_dwordx8 s[12:19], s[4:5], 0x8
	s_load_dword s9, s[4:5], 0x28
	s_load_dwordx4 s[0:3], s[4:5], 0x30
	s_load_dwordx8 s[20:27], s[4:5], 0x50
	s_load_dwordx2 s[6:7], s[4:5], 0x40
	s_ashr_i32 s28, s8, 31
	s_waitcnt lgkmcnt(0)
	s_load_dword s15, s[4:5], 0x48
	s_load_dwordx2 s[10:11], s[4:5], 0x70
	s_mul_i32 s1, s1, s8
	s_mul_hi_u32 s4, s20, s8
	s_mul_i32 s5, s20, s28
	s_add_i32 s4, s4, s5
	s_mul_i32 s5, s21, s8
	s_add_i32 s5, s4, s5
	s_mul_i32 s4, s20, s8
	s_lshl_b64 s[4:5], s[4:5], 4
	s_add_u32 s4, s2, s4
	s_addc_u32 s5, s3, s5
	s_lshl_b64 s[2:3], s[6:7], 4
	s_add_u32 s2, s4, s2
	s_addc_u32 s3, s5, s3
	s_mul_hi_u32 s4, s0, s8
	s_mul_i32 s5, s0, s28
	s_add_i32 s4, s4, s5
	v_mul_lo_u32 v3, v2, s9
	s_add_i32 s1, s4, s1
	s_mul_i32 s0, s0, s8
	s_lshl_b64 s[0:1], s[0:1], 4
	s_add_u32 s4, s16, s0
	s_addc_u32 s5, s17, s1
	s_lshl_b64 s[0:1], s[18:19], 4
	v_ashrrev_i32_e32 v4, 31, v3
	s_add_u32 s0, s4, s0
	v_lshlrev_b64 v[3:4], 4, v[3:4]
	s_addc_u32 s1, s5, s1
	v_mov_b32_e32 v1, s1
	v_add_co_u32_e32 v3, vcc, s0, v3
	v_addc_co_u32_e32 v4, vcc, v1, v4, vcc
	global_load_dwordx4 v[3:6], v[3:4], off
	s_waitcnt lgkmcnt(0)
	v_mul_lo_u32 v7, v0, s15
	v_mov_b32_e32 v1, s3
	s_mul_hi_u32 s0, s10, s8
	s_mul_i32 s1, s10, s28
	v_ashrrev_i32_e32 v8, 31, v7
	v_lshlrev_b64 v[7:8], 4, v[7:8]
	s_add_i32 s0, s0, s1
	v_add_co_u32_e32 v7, vcc, s2, v7
	v_addc_co_u32_e32 v8, vcc, v1, v8, vcc
	global_load_dwordx4 v[7:10], v[7:8], off
	s_mul_i32 s1, s11, s8
	v_mul_lo_u32 v1, v2, s26
	s_add_i32 s1, s0, s1
	s_mul_i32 s0, s10, s8
	s_lshl_b64 s[0:1], s[0:1], 4
	s_add_u32 s2, s22, s0
	s_addc_u32 s3, s23, s1
	v_mad_u64_u32 v[0:1], s[0:1], v0, s27, v[1:2]
	s_lshl_b64 s[0:1], s[24:25], 4
	s_add_u32 s0, s2, s0
	v_ashrrev_i32_e32 v1, 31, v0
	v_lshlrev_b64 v[0:1], 4, v[0:1]
	s_addc_u32 s1, s3, s1
	v_mov_b32_e32 v2, s1
	v_add_co_u32_e32 v15, vcc, s0, v0
	v_addc_co_u32_e32 v16, vcc, v2, v1, vcc
	global_load_dwordx4 v[11:14], v[15:16], off
	s_mul_i32 s0, s8, s14
	s_ashr_i32 s1, s0, 31
	s_lshl_b64 s[0:1], s[0:1], 4
	s_add_u32 s4, s12, s0
	s_addc_u32 s5, s13, s1
	s_load_dwordx4 s[0:3], s[4:5], 0x0
	s_waitcnt vmcnt(2) lgkmcnt(0)
	v_mul_f64 v[0:1], s[0:1], v[5:6]
	v_mul_f64 v[5:6], s[2:3], v[5:6]
	v_fma_f64 v[0:1], s[2:3], v[3:4], v[0:1]
	v_fma_f64 v[2:3], s[0:1], v[3:4], -v[5:6]
	s_waitcnt vmcnt(1)
	v_mul_f64 v[4:5], v[9:10], v[0:1]
	v_mul_f64 v[0:1], v[7:8], v[0:1]
	v_fma_f64 v[4:5], v[7:8], v[2:3], -v[4:5]
	v_fma_f64 v[2:3], v[9:10], v[2:3], v[0:1]
	s_waitcnt vmcnt(0)
	v_add_f64 v[0:1], v[11:12], v[4:5]
	v_add_f64 v[2:3], v[2:3], v[13:14]
	global_store_dwordx4 v[15:16], v[0:3], off
.LBB0_2:
	s_endpgm
	.section	.rodata,"a",@progbits
	.p2align	6, 0x0
	.amdhsa_kernel _ZN9rocsolver6v33100L10ger_kernelI19rocblas_complex_numIdEiPKS3_PS3_S6_S6_EEvT0_S7_T1_lT2_lS7_lT3_lS7_lT4_lS7_S7_l
		.amdhsa_group_segment_fixed_size 0
		.amdhsa_private_segment_fixed_size 0
		.amdhsa_kernarg_size 376
		.amdhsa_user_sgpr_count 6
		.amdhsa_user_sgpr_private_segment_buffer 1
		.amdhsa_user_sgpr_dispatch_ptr 0
		.amdhsa_user_sgpr_queue_ptr 0
		.amdhsa_user_sgpr_kernarg_segment_ptr 1
		.amdhsa_user_sgpr_dispatch_id 0
		.amdhsa_user_sgpr_flat_scratch_init 0
		.amdhsa_user_sgpr_private_segment_size 0
		.amdhsa_uses_dynamic_stack 0
		.amdhsa_system_sgpr_private_segment_wavefront_offset 0
		.amdhsa_system_sgpr_workgroup_id_x 1
		.amdhsa_system_sgpr_workgroup_id_y 1
		.amdhsa_system_sgpr_workgroup_id_z 1
		.amdhsa_system_sgpr_workgroup_info 0
		.amdhsa_system_vgpr_workitem_id 1
		.amdhsa_next_free_vgpr 17
		.amdhsa_next_free_sgpr 29
		.amdhsa_reserve_vcc 1
		.amdhsa_reserve_flat_scratch 0
		.amdhsa_float_round_mode_32 0
		.amdhsa_float_round_mode_16_64 0
		.amdhsa_float_denorm_mode_32 3
		.amdhsa_float_denorm_mode_16_64 3
		.amdhsa_dx10_clamp 1
		.amdhsa_ieee_mode 1
		.amdhsa_fp16_overflow 0
		.amdhsa_exception_fp_ieee_invalid_op 0
		.amdhsa_exception_fp_denorm_src 0
		.amdhsa_exception_fp_ieee_div_zero 0
		.amdhsa_exception_fp_ieee_overflow 0
		.amdhsa_exception_fp_ieee_underflow 0
		.amdhsa_exception_fp_ieee_inexact 0
		.amdhsa_exception_int_div_zero 0
	.end_amdhsa_kernel
	.section	.text._ZN9rocsolver6v33100L10ger_kernelI19rocblas_complex_numIdEiPKS3_PS3_S6_S6_EEvT0_S7_T1_lT2_lS7_lT3_lS7_lT4_lS7_S7_l,"axG",@progbits,_ZN9rocsolver6v33100L10ger_kernelI19rocblas_complex_numIdEiPKS3_PS3_S6_S6_EEvT0_S7_T1_lT2_lS7_lT3_lS7_lT4_lS7_S7_l,comdat
.Lfunc_end0:
	.size	_ZN9rocsolver6v33100L10ger_kernelI19rocblas_complex_numIdEiPKS3_PS3_S6_S6_EEvT0_S7_T1_lT2_lS7_lT3_lS7_lT4_lS7_S7_l, .Lfunc_end0-_ZN9rocsolver6v33100L10ger_kernelI19rocblas_complex_numIdEiPKS3_PS3_S6_S6_EEvT0_S7_T1_lT2_lS7_lT3_lS7_lT4_lS7_S7_l
                                        ; -- End function
	.set _ZN9rocsolver6v33100L10ger_kernelI19rocblas_complex_numIdEiPKS3_PS3_S6_S6_EEvT0_S7_T1_lT2_lS7_lT3_lS7_lT4_lS7_S7_l.num_vgpr, 17
	.set _ZN9rocsolver6v33100L10ger_kernelI19rocblas_complex_numIdEiPKS3_PS3_S6_S6_EEvT0_S7_T1_lT2_lS7_lT3_lS7_lT4_lS7_S7_l.num_agpr, 0
	.set _ZN9rocsolver6v33100L10ger_kernelI19rocblas_complex_numIdEiPKS3_PS3_S6_S6_EEvT0_S7_T1_lT2_lS7_lT3_lS7_lT4_lS7_S7_l.numbered_sgpr, 29
	.set _ZN9rocsolver6v33100L10ger_kernelI19rocblas_complex_numIdEiPKS3_PS3_S6_S6_EEvT0_S7_T1_lT2_lS7_lT3_lS7_lT4_lS7_S7_l.num_named_barrier, 0
	.set _ZN9rocsolver6v33100L10ger_kernelI19rocblas_complex_numIdEiPKS3_PS3_S6_S6_EEvT0_S7_T1_lT2_lS7_lT3_lS7_lT4_lS7_S7_l.private_seg_size, 0
	.set _ZN9rocsolver6v33100L10ger_kernelI19rocblas_complex_numIdEiPKS3_PS3_S6_S6_EEvT0_S7_T1_lT2_lS7_lT3_lS7_lT4_lS7_S7_l.uses_vcc, 1
	.set _ZN9rocsolver6v33100L10ger_kernelI19rocblas_complex_numIdEiPKS3_PS3_S6_S6_EEvT0_S7_T1_lT2_lS7_lT3_lS7_lT4_lS7_S7_l.uses_flat_scratch, 0
	.set _ZN9rocsolver6v33100L10ger_kernelI19rocblas_complex_numIdEiPKS3_PS3_S6_S6_EEvT0_S7_T1_lT2_lS7_lT3_lS7_lT4_lS7_S7_l.has_dyn_sized_stack, 0
	.set _ZN9rocsolver6v33100L10ger_kernelI19rocblas_complex_numIdEiPKS3_PS3_S6_S6_EEvT0_S7_T1_lT2_lS7_lT3_lS7_lT4_lS7_S7_l.has_recursion, 0
	.set _ZN9rocsolver6v33100L10ger_kernelI19rocblas_complex_numIdEiPKS3_PS3_S6_S6_EEvT0_S7_T1_lT2_lS7_lT3_lS7_lT4_lS7_S7_l.has_indirect_call, 0
	.section	.AMDGPU.csdata,"",@progbits
; Kernel info:
; codeLenInByte = 544
; TotalNumSgprs: 33
; NumVgprs: 17
; ScratchSize: 0
; MemoryBound: 0
; FloatMode: 240
; IeeeMode: 1
; LDSByteSize: 0 bytes/workgroup (compile time only)
; SGPRBlocks: 4
; VGPRBlocks: 4
; NumSGPRsForWavesPerEU: 33
; NumVGPRsForWavesPerEU: 17
; Occupancy: 10
; WaveLimiterHint : 0
; COMPUTE_PGM_RSRC2:SCRATCH_EN: 0
; COMPUTE_PGM_RSRC2:USER_SGPR: 6
; COMPUTE_PGM_RSRC2:TRAP_HANDLER: 0
; COMPUTE_PGM_RSRC2:TGID_X_EN: 1
; COMPUTE_PGM_RSRC2:TGID_Y_EN: 1
; COMPUTE_PGM_RSRC2:TGID_Z_EN: 1
; COMPUTE_PGM_RSRC2:TIDIG_COMP_CNT: 1
	.section	.text._ZN9rocsolver6v33100L10ger_kernelI19rocblas_complex_numIdEiS3_PS3_S4_S4_EEvT0_S5_T1_lT2_lS5_lT3_lS5_lT4_lS5_S5_l,"axG",@progbits,_ZN9rocsolver6v33100L10ger_kernelI19rocblas_complex_numIdEiS3_PS3_S4_S4_EEvT0_S5_T1_lT2_lS5_lT3_lS5_lT4_lS5_S5_l,comdat
	.globl	_ZN9rocsolver6v33100L10ger_kernelI19rocblas_complex_numIdEiS3_PS3_S4_S4_EEvT0_S5_T1_lT2_lS5_lT3_lS5_lT4_lS5_S5_l ; -- Begin function _ZN9rocsolver6v33100L10ger_kernelI19rocblas_complex_numIdEiS3_PS3_S4_S4_EEvT0_S5_T1_lT2_lS5_lT3_lS5_lT4_lS5_S5_l
	.p2align	8
	.type	_ZN9rocsolver6v33100L10ger_kernelI19rocblas_complex_numIdEiS3_PS3_S4_S4_EEvT0_S5_T1_lT2_lS5_lT3_lS5_lT4_lS5_S5_l,@function
_ZN9rocsolver6v33100L10ger_kernelI19rocblas_complex_numIdEiS3_PS3_S4_S4_EEvT0_S5_T1_lT2_lS5_lT3_lS5_lT4_lS5_S5_l: ; @_ZN9rocsolver6v33100L10ger_kernelI19rocblas_complex_numIdEiS3_PS3_S4_S4_EEvT0_S5_T1_lT2_lS5_lT3_lS5_lT4_lS5_S5_l
; %bb.0:
	s_load_dword s2, s[4:5], 0x8c
	s_load_dwordx2 s[0:1], s[4:5], 0x0
	s_waitcnt lgkmcnt(0)
	s_lshr_b32 s3, s2, 16
	s_and_b32 s2, s2, 0xffff
	s_mul_i32 s6, s6, s2
	s_mul_i32 s7, s7, s3
	v_add_u32_e32 v2, s6, v0
	v_add_u32_e32 v0, s7, v1
	v_cmp_gt_i32_e32 vcc, s0, v2
	v_cmp_gt_i32_e64 s[0:1], s1, v0
	s_and_b64 s[0:1], vcc, s[0:1]
	s_and_saveexec_b64 s[2:3], s[0:1]
	s_cbranch_execz .LBB1_2
; %bb.1:
	s_load_dwordx4 s[0:3], s[4:5], 0x20
	s_load_dword s9, s[4:5], 0x30
	s_load_dwordx4 s[20:23], s[4:5], 0x38
	s_load_dwordx8 s[12:19], s[4:5], 0x58
	s_load_dwordx2 s[6:7], s[4:5], 0x48
	s_load_dword s24, s[4:5], 0x50
	s_load_dwordx2 s[10:11], s[4:5], 0x78
	s_ashr_i32 s25, s8, 31
	s_waitcnt lgkmcnt(0)
	s_mul_hi_u32 s26, s12, s8
	s_mul_i32 s27, s12, s25
	s_add_i32 s26, s26, s27
	s_mul_i32 s13, s13, s8
	s_add_i32 s13, s26, s13
	s_mul_i32 s12, s12, s8
	s_lshl_b64 s[12:13], s[12:13], 4
	s_add_u32 s12, s22, s12
	s_addc_u32 s13, s23, s13
	s_lshl_b64 s[6:7], s[6:7], 4
	s_add_u32 s12, s12, s6
	s_addc_u32 s13, s13, s7
	s_mul_hi_u32 s6, s20, s8
	s_mul_i32 s7, s20, s25
	s_add_i32 s6, s6, s7
	s_mul_i32 s7, s21, s8
	v_mul_lo_u32 v3, v2, s9
	s_add_i32 s7, s6, s7
	s_mul_i32 s6, s20, s8
	s_lshl_b64 s[6:7], s[6:7], 4
	s_add_u32 s6, s0, s6
	s_addc_u32 s7, s1, s7
	s_lshl_b64 s[0:1], s[2:3], 4
	v_ashrrev_i32_e32 v4, 31, v3
	s_add_u32 s0, s6, s0
	v_lshlrev_b64 v[3:4], 4, v[3:4]
	s_addc_u32 s1, s7, s1
	v_mov_b32_e32 v1, s1
	v_add_co_u32_e32 v3, vcc, s0, v3
	v_addc_co_u32_e32 v4, vcc, v1, v4, vcc
	global_load_dwordx4 v[3:6], v[3:4], off
	v_mul_lo_u32 v7, v0, s24
	v_mov_b32_e32 v1, s13
	s_mul_hi_u32 s0, s10, s8
	s_mul_i32 s1, s10, s25
	v_ashrrev_i32_e32 v8, 31, v7
	v_lshlrev_b64 v[7:8], 4, v[7:8]
	s_add_i32 s0, s0, s1
	v_add_co_u32_e32 v7, vcc, s12, v7
	v_addc_co_u32_e32 v8, vcc, v1, v8, vcc
	global_load_dwordx4 v[7:10], v[7:8], off
	s_mul_i32 s1, s11, s8
	v_mul_lo_u32 v1, v2, s18
	s_add_i32 s1, s0, s1
	s_mul_i32 s0, s10, s8
	s_lshl_b64 s[0:1], s[0:1], 4
	s_add_u32 s2, s14, s0
	s_addc_u32 s3, s15, s1
	v_mad_u64_u32 v[0:1], s[0:1], v0, s19, v[1:2]
	s_lshl_b64 s[0:1], s[16:17], 4
	s_add_u32 s0, s2, s0
	v_ashrrev_i32_e32 v1, 31, v0
	v_lshlrev_b64 v[0:1], 4, v[0:1]
	s_addc_u32 s1, s3, s1
	v_mov_b32_e32 v2, s1
	v_add_co_u32_e32 v15, vcc, s0, v0
	v_addc_co_u32_e32 v16, vcc, v2, v1, vcc
	global_load_dwordx4 v[11:14], v[15:16], off
	s_load_dwordx4 s[0:3], s[4:5], 0x8
	s_waitcnt vmcnt(2) lgkmcnt(0)
	v_mul_f64 v[0:1], s[0:1], v[5:6]
	v_mul_f64 v[5:6], s[2:3], v[5:6]
	v_fma_f64 v[0:1], s[2:3], v[3:4], v[0:1]
	v_fma_f64 v[2:3], s[0:1], v[3:4], -v[5:6]
	s_waitcnt vmcnt(1)
	v_mul_f64 v[4:5], v[9:10], v[0:1]
	v_mul_f64 v[0:1], v[7:8], v[0:1]
	v_fma_f64 v[4:5], v[7:8], v[2:3], -v[4:5]
	v_fma_f64 v[2:3], v[9:10], v[2:3], v[0:1]
	s_waitcnt vmcnt(0)
	v_add_f64 v[0:1], v[11:12], v[4:5]
	v_add_f64 v[2:3], v[2:3], v[13:14]
	global_store_dwordx4 v[15:16], v[0:3], off
.LBB1_2:
	s_endpgm
	.section	.rodata,"a",@progbits
	.p2align	6, 0x0
	.amdhsa_kernel _ZN9rocsolver6v33100L10ger_kernelI19rocblas_complex_numIdEiS3_PS3_S4_S4_EEvT0_S5_T1_lT2_lS5_lT3_lS5_lT4_lS5_S5_l
		.amdhsa_group_segment_fixed_size 0
		.amdhsa_private_segment_fixed_size 0
		.amdhsa_kernarg_size 384
		.amdhsa_user_sgpr_count 6
		.amdhsa_user_sgpr_private_segment_buffer 1
		.amdhsa_user_sgpr_dispatch_ptr 0
		.amdhsa_user_sgpr_queue_ptr 0
		.amdhsa_user_sgpr_kernarg_segment_ptr 1
		.amdhsa_user_sgpr_dispatch_id 0
		.amdhsa_user_sgpr_flat_scratch_init 0
		.amdhsa_user_sgpr_private_segment_size 0
		.amdhsa_uses_dynamic_stack 0
		.amdhsa_system_sgpr_private_segment_wavefront_offset 0
		.amdhsa_system_sgpr_workgroup_id_x 1
		.amdhsa_system_sgpr_workgroup_id_y 1
		.amdhsa_system_sgpr_workgroup_id_z 1
		.amdhsa_system_sgpr_workgroup_info 0
		.amdhsa_system_vgpr_workitem_id 1
		.amdhsa_next_free_vgpr 17
		.amdhsa_next_free_sgpr 28
		.amdhsa_reserve_vcc 1
		.amdhsa_reserve_flat_scratch 0
		.amdhsa_float_round_mode_32 0
		.amdhsa_float_round_mode_16_64 0
		.amdhsa_float_denorm_mode_32 3
		.amdhsa_float_denorm_mode_16_64 3
		.amdhsa_dx10_clamp 1
		.amdhsa_ieee_mode 1
		.amdhsa_fp16_overflow 0
		.amdhsa_exception_fp_ieee_invalid_op 0
		.amdhsa_exception_fp_denorm_src 0
		.amdhsa_exception_fp_ieee_div_zero 0
		.amdhsa_exception_fp_ieee_overflow 0
		.amdhsa_exception_fp_ieee_underflow 0
		.amdhsa_exception_fp_ieee_inexact 0
		.amdhsa_exception_int_div_zero 0
	.end_amdhsa_kernel
	.section	.text._ZN9rocsolver6v33100L10ger_kernelI19rocblas_complex_numIdEiS3_PS3_S4_S4_EEvT0_S5_T1_lT2_lS5_lT3_lS5_lT4_lS5_S5_l,"axG",@progbits,_ZN9rocsolver6v33100L10ger_kernelI19rocblas_complex_numIdEiS3_PS3_S4_S4_EEvT0_S5_T1_lT2_lS5_lT3_lS5_lT4_lS5_S5_l,comdat
.Lfunc_end1:
	.size	_ZN9rocsolver6v33100L10ger_kernelI19rocblas_complex_numIdEiS3_PS3_S4_S4_EEvT0_S5_T1_lT2_lS5_lT3_lS5_lT4_lS5_S5_l, .Lfunc_end1-_ZN9rocsolver6v33100L10ger_kernelI19rocblas_complex_numIdEiS3_PS3_S4_S4_EEvT0_S5_T1_lT2_lS5_lT3_lS5_lT4_lS5_S5_l
                                        ; -- End function
	.set _ZN9rocsolver6v33100L10ger_kernelI19rocblas_complex_numIdEiS3_PS3_S4_S4_EEvT0_S5_T1_lT2_lS5_lT3_lS5_lT4_lS5_S5_l.num_vgpr, 17
	.set _ZN9rocsolver6v33100L10ger_kernelI19rocblas_complex_numIdEiS3_PS3_S4_S4_EEvT0_S5_T1_lT2_lS5_lT3_lS5_lT4_lS5_S5_l.num_agpr, 0
	.set _ZN9rocsolver6v33100L10ger_kernelI19rocblas_complex_numIdEiS3_PS3_S4_S4_EEvT0_S5_T1_lT2_lS5_lT3_lS5_lT4_lS5_S5_l.numbered_sgpr, 28
	.set _ZN9rocsolver6v33100L10ger_kernelI19rocblas_complex_numIdEiS3_PS3_S4_S4_EEvT0_S5_T1_lT2_lS5_lT3_lS5_lT4_lS5_S5_l.num_named_barrier, 0
	.set _ZN9rocsolver6v33100L10ger_kernelI19rocblas_complex_numIdEiS3_PS3_S4_S4_EEvT0_S5_T1_lT2_lS5_lT3_lS5_lT4_lS5_S5_l.private_seg_size, 0
	.set _ZN9rocsolver6v33100L10ger_kernelI19rocblas_complex_numIdEiS3_PS3_S4_S4_EEvT0_S5_T1_lT2_lS5_lT3_lS5_lT4_lS5_S5_l.uses_vcc, 1
	.set _ZN9rocsolver6v33100L10ger_kernelI19rocblas_complex_numIdEiS3_PS3_S4_S4_EEvT0_S5_T1_lT2_lS5_lT3_lS5_lT4_lS5_S5_l.uses_flat_scratch, 0
	.set _ZN9rocsolver6v33100L10ger_kernelI19rocblas_complex_numIdEiS3_PS3_S4_S4_EEvT0_S5_T1_lT2_lS5_lT3_lS5_lT4_lS5_S5_l.has_dyn_sized_stack, 0
	.set _ZN9rocsolver6v33100L10ger_kernelI19rocblas_complex_numIdEiS3_PS3_S4_S4_EEvT0_S5_T1_lT2_lS5_lT3_lS5_lT4_lS5_S5_l.has_recursion, 0
	.set _ZN9rocsolver6v33100L10ger_kernelI19rocblas_complex_numIdEiS3_PS3_S4_S4_EEvT0_S5_T1_lT2_lS5_lT3_lS5_lT4_lS5_S5_l.has_indirect_call, 0
	.section	.AMDGPU.csdata,"",@progbits
; Kernel info:
; codeLenInByte = 520
; TotalNumSgprs: 32
; NumVgprs: 17
; ScratchSize: 0
; MemoryBound: 0
; FloatMode: 240
; IeeeMode: 1
; LDSByteSize: 0 bytes/workgroup (compile time only)
; SGPRBlocks: 3
; VGPRBlocks: 4
; NumSGPRsForWavesPerEU: 32
; NumVGPRsForWavesPerEU: 17
; Occupancy: 10
; WaveLimiterHint : 1
; COMPUTE_PGM_RSRC2:SCRATCH_EN: 0
; COMPUTE_PGM_RSRC2:USER_SGPR: 6
; COMPUTE_PGM_RSRC2:TRAP_HANDLER: 0
; COMPUTE_PGM_RSRC2:TGID_X_EN: 1
; COMPUTE_PGM_RSRC2:TGID_Y_EN: 1
; COMPUTE_PGM_RSRC2:TGID_Z_EN: 1
; COMPUTE_PGM_RSRC2:TIDIG_COMP_CNT: 1
	.section	.text._ZN9rocsolver6v33100L10ger_kernelI19rocblas_complex_numIdEiPKS3_PKPS3_S8_S8_EEvT0_S9_T1_lT2_lS9_lT3_lS9_lT4_lS9_S9_l,"axG",@progbits,_ZN9rocsolver6v33100L10ger_kernelI19rocblas_complex_numIdEiPKS3_PKPS3_S8_S8_EEvT0_S9_T1_lT2_lS9_lT3_lS9_lT4_lS9_S9_l,comdat
	.globl	_ZN9rocsolver6v33100L10ger_kernelI19rocblas_complex_numIdEiPKS3_PKPS3_S8_S8_EEvT0_S9_T1_lT2_lS9_lT3_lS9_lT4_lS9_S9_l ; -- Begin function _ZN9rocsolver6v33100L10ger_kernelI19rocblas_complex_numIdEiPKS3_PKPS3_S8_S8_EEvT0_S9_T1_lT2_lS9_lT3_lS9_lT4_lS9_S9_l
	.p2align	8
	.type	_ZN9rocsolver6v33100L10ger_kernelI19rocblas_complex_numIdEiPKS3_PKPS3_S8_S8_EEvT0_S9_T1_lT2_lS9_lT3_lS9_lT4_lS9_S9_l,@function
_ZN9rocsolver6v33100L10ger_kernelI19rocblas_complex_numIdEiPKS3_PKPS3_S8_S8_EEvT0_S9_T1_lT2_lS9_lT3_lS9_lT4_lS9_S9_l: ; @_ZN9rocsolver6v33100L10ger_kernelI19rocblas_complex_numIdEiPKS3_PKPS3_S8_S8_EEvT0_S9_T1_lT2_lS9_lT3_lS9_lT4_lS9_S9_l
; %bb.0:
	s_load_dword s2, s[4:5], 0x84
	s_load_dwordx2 s[0:1], s[4:5], 0x0
	s_waitcnt lgkmcnt(0)
	s_lshr_b32 s3, s2, 16
	s_and_b32 s2, s2, 0xffff
	s_mul_i32 s6, s6, s2
	s_mul_i32 s7, s7, s3
	v_add_u32_e32 v2, s6, v0
	v_add_u32_e32 v0, s7, v1
	v_cmp_gt_i32_e32 vcc, s0, v2
	v_cmp_gt_i32_e64 s[0:1], s1, v0
	s_and_b64 s[0:1], vcc, s[0:1]
	s_and_saveexec_b64 s[2:3], s[0:1]
	s_cbranch_execz .LBB2_2
; %bb.1:
	s_load_dwordx4 s[0:3], s[4:5], 0x38
	s_load_dword s20, s[4:5], 0x28
	s_load_dword s21, s[4:5], 0x48
	s_ashr_i32 s9, s8, 31
	s_lshl_b64 s[6:7], s[8:9], 3
	s_waitcnt lgkmcnt(0)
	s_add_u32 s0, s0, s6
	s_addc_u32 s1, s1, s7
	s_load_dwordx2 s[10:11], s[0:1], 0x0
	s_load_dwordx8 s[12:19], s[4:5], 0x8
	s_lshl_b64 s[0:1], s[2:3], 4
	v_mul_lo_u32 v3, v2, s20
	s_waitcnt lgkmcnt(0)
	s_add_u32 s9, s10, s0
	s_addc_u32 s15, s11, s1
	s_add_u32 s0, s16, s6
	s_addc_u32 s1, s17, s7
	s_load_dwordx2 s[0:1], s[0:1], 0x0
	v_ashrrev_i32_e32 v4, 31, v3
	s_lshl_b64 s[2:3], s[18:19], 4
	v_lshlrev_b64 v[3:4], 4, v[3:4]
	s_load_dwordx2 s[10:11], s[4:5], 0x68
	s_waitcnt lgkmcnt(0)
	s_add_u32 s0, s0, s2
	s_addc_u32 s1, s1, s3
	v_mov_b32_e32 v1, s1
	v_add_co_u32_e32 v3, vcc, s0, v3
	v_addc_co_u32_e32 v4, vcc, v1, v4, vcc
	flat_load_dwordx4 v[3:6], v[3:4]
	v_mul_lo_u32 v1, v0, s21
	s_load_dwordx4 s[0:3], s[4:5], 0x58
	v_mul_lo_u32 v11, v2, s10
	v_mov_b32_e32 v7, s15
	v_ashrrev_i32_e32 v2, 31, v1
	v_lshlrev_b64 v[1:2], 4, v[1:2]
	s_waitcnt lgkmcnt(0)
	s_add_u32 s0, s0, s6
	v_add_co_u32_e32 v1, vcc, s9, v1
	v_addc_co_u32_e32 v2, vcc, v7, v2, vcc
	flat_load_dwordx4 v[7:10], v[1:2]
	s_addc_u32 s1, s1, s7
	v_mad_u64_u32 v[0:1], s[4:5], v0, s11, v[11:12]
	s_load_dwordx2 s[0:1], s[0:1], 0x0
	s_lshl_b64 s[2:3], s[2:3], 4
	v_ashrrev_i32_e32 v1, 31, v0
	v_lshlrev_b64 v[0:1], 4, v[0:1]
	s_waitcnt lgkmcnt(0)
	s_add_u32 s0, s0, s2
	s_addc_u32 s1, s1, s3
	v_mov_b32_e32 v2, s1
	v_add_co_u32_e32 v15, vcc, s0, v0
	v_addc_co_u32_e32 v16, vcc, v2, v1, vcc
	flat_load_dwordx4 v[11:14], v[15:16]
	s_mul_i32 s0, s8, s14
	s_ashr_i32 s1, s0, 31
	s_lshl_b64 s[0:1], s[0:1], 4
	s_add_u32 s4, s12, s0
	s_addc_u32 s5, s13, s1
	s_load_dwordx4 s[0:3], s[4:5], 0x0
	s_waitcnt vmcnt(0) lgkmcnt(0)
	v_mul_f64 v[0:1], s[0:1], v[5:6]
	v_mul_f64 v[5:6], s[2:3], v[5:6]
	v_fma_f64 v[0:1], s[2:3], v[3:4], v[0:1]
	v_fma_f64 v[2:3], s[0:1], v[3:4], -v[5:6]
	v_mul_f64 v[4:5], v[9:10], v[0:1]
	v_mul_f64 v[0:1], v[7:8], v[0:1]
	v_fma_f64 v[4:5], v[7:8], v[2:3], -v[4:5]
	v_fma_f64 v[2:3], v[9:10], v[2:3], v[0:1]
	v_add_f64 v[0:1], v[11:12], v[4:5]
	v_add_f64 v[2:3], v[2:3], v[13:14]
	flat_store_dwordx4 v[15:16], v[0:3]
.LBB2_2:
	s_endpgm
	.section	.rodata,"a",@progbits
	.p2align	6, 0x0
	.amdhsa_kernel _ZN9rocsolver6v33100L10ger_kernelI19rocblas_complex_numIdEiPKS3_PKPS3_S8_S8_EEvT0_S9_T1_lT2_lS9_lT3_lS9_lT4_lS9_S9_l
		.amdhsa_group_segment_fixed_size 0
		.amdhsa_private_segment_fixed_size 0
		.amdhsa_kernarg_size 376
		.amdhsa_user_sgpr_count 6
		.amdhsa_user_sgpr_private_segment_buffer 1
		.amdhsa_user_sgpr_dispatch_ptr 0
		.amdhsa_user_sgpr_queue_ptr 0
		.amdhsa_user_sgpr_kernarg_segment_ptr 1
		.amdhsa_user_sgpr_dispatch_id 0
		.amdhsa_user_sgpr_flat_scratch_init 0
		.amdhsa_user_sgpr_private_segment_size 0
		.amdhsa_uses_dynamic_stack 0
		.amdhsa_system_sgpr_private_segment_wavefront_offset 0
		.amdhsa_system_sgpr_workgroup_id_x 1
		.amdhsa_system_sgpr_workgroup_id_y 1
		.amdhsa_system_sgpr_workgroup_id_z 1
		.amdhsa_system_sgpr_workgroup_info 0
		.amdhsa_system_vgpr_workitem_id 1
		.amdhsa_next_free_vgpr 17
		.amdhsa_next_free_sgpr 22
		.amdhsa_reserve_vcc 1
		.amdhsa_reserve_flat_scratch 0
		.amdhsa_float_round_mode_32 0
		.amdhsa_float_round_mode_16_64 0
		.amdhsa_float_denorm_mode_32 3
		.amdhsa_float_denorm_mode_16_64 3
		.amdhsa_dx10_clamp 1
		.amdhsa_ieee_mode 1
		.amdhsa_fp16_overflow 0
		.amdhsa_exception_fp_ieee_invalid_op 0
		.amdhsa_exception_fp_denorm_src 0
		.amdhsa_exception_fp_ieee_div_zero 0
		.amdhsa_exception_fp_ieee_overflow 0
		.amdhsa_exception_fp_ieee_underflow 0
		.amdhsa_exception_fp_ieee_inexact 0
		.amdhsa_exception_int_div_zero 0
	.end_amdhsa_kernel
	.section	.text._ZN9rocsolver6v33100L10ger_kernelI19rocblas_complex_numIdEiPKS3_PKPS3_S8_S8_EEvT0_S9_T1_lT2_lS9_lT3_lS9_lT4_lS9_S9_l,"axG",@progbits,_ZN9rocsolver6v33100L10ger_kernelI19rocblas_complex_numIdEiPKS3_PKPS3_S8_S8_EEvT0_S9_T1_lT2_lS9_lT3_lS9_lT4_lS9_S9_l,comdat
.Lfunc_end2:
	.size	_ZN9rocsolver6v33100L10ger_kernelI19rocblas_complex_numIdEiPKS3_PKPS3_S8_S8_EEvT0_S9_T1_lT2_lS9_lT3_lS9_lT4_lS9_S9_l, .Lfunc_end2-_ZN9rocsolver6v33100L10ger_kernelI19rocblas_complex_numIdEiPKS3_PKPS3_S8_S8_EEvT0_S9_T1_lT2_lS9_lT3_lS9_lT4_lS9_S9_l
                                        ; -- End function
	.set _ZN9rocsolver6v33100L10ger_kernelI19rocblas_complex_numIdEiPKS3_PKPS3_S8_S8_EEvT0_S9_T1_lT2_lS9_lT3_lS9_lT4_lS9_S9_l.num_vgpr, 17
	.set _ZN9rocsolver6v33100L10ger_kernelI19rocblas_complex_numIdEiPKS3_PKPS3_S8_S8_EEvT0_S9_T1_lT2_lS9_lT3_lS9_lT4_lS9_S9_l.num_agpr, 0
	.set _ZN9rocsolver6v33100L10ger_kernelI19rocblas_complex_numIdEiPKS3_PKPS3_S8_S8_EEvT0_S9_T1_lT2_lS9_lT3_lS9_lT4_lS9_S9_l.numbered_sgpr, 22
	.set _ZN9rocsolver6v33100L10ger_kernelI19rocblas_complex_numIdEiPKS3_PKPS3_S8_S8_EEvT0_S9_T1_lT2_lS9_lT3_lS9_lT4_lS9_S9_l.num_named_barrier, 0
	.set _ZN9rocsolver6v33100L10ger_kernelI19rocblas_complex_numIdEiPKS3_PKPS3_S8_S8_EEvT0_S9_T1_lT2_lS9_lT3_lS9_lT4_lS9_S9_l.private_seg_size, 0
	.set _ZN9rocsolver6v33100L10ger_kernelI19rocblas_complex_numIdEiPKS3_PKPS3_S8_S8_EEvT0_S9_T1_lT2_lS9_lT3_lS9_lT4_lS9_S9_l.uses_vcc, 1
	.set _ZN9rocsolver6v33100L10ger_kernelI19rocblas_complex_numIdEiPKS3_PKPS3_S8_S8_EEvT0_S9_T1_lT2_lS9_lT3_lS9_lT4_lS9_S9_l.uses_flat_scratch, 0
	.set _ZN9rocsolver6v33100L10ger_kernelI19rocblas_complex_numIdEiPKS3_PKPS3_S8_S8_EEvT0_S9_T1_lT2_lS9_lT3_lS9_lT4_lS9_S9_l.has_dyn_sized_stack, 0
	.set _ZN9rocsolver6v33100L10ger_kernelI19rocblas_complex_numIdEiPKS3_PKPS3_S8_S8_EEvT0_S9_T1_lT2_lS9_lT3_lS9_lT4_lS9_S9_l.has_recursion, 0
	.set _ZN9rocsolver6v33100L10ger_kernelI19rocblas_complex_numIdEiPKS3_PKPS3_S8_S8_EEvT0_S9_T1_lT2_lS9_lT3_lS9_lT4_lS9_S9_l.has_indirect_call, 0
	.section	.AMDGPU.csdata,"",@progbits
; Kernel info:
; codeLenInByte = 484
; TotalNumSgprs: 26
; NumVgprs: 17
; ScratchSize: 0
; MemoryBound: 0
; FloatMode: 240
; IeeeMode: 1
; LDSByteSize: 0 bytes/workgroup (compile time only)
; SGPRBlocks: 3
; VGPRBlocks: 4
; NumSGPRsForWavesPerEU: 26
; NumVGPRsForWavesPerEU: 17
; Occupancy: 10
; WaveLimiterHint : 1
; COMPUTE_PGM_RSRC2:SCRATCH_EN: 0
; COMPUTE_PGM_RSRC2:USER_SGPR: 6
; COMPUTE_PGM_RSRC2:TRAP_HANDLER: 0
; COMPUTE_PGM_RSRC2:TGID_X_EN: 1
; COMPUTE_PGM_RSRC2:TGID_Y_EN: 1
; COMPUTE_PGM_RSRC2:TGID_Z_EN: 1
; COMPUTE_PGM_RSRC2:TIDIG_COMP_CNT: 1
	.section	.text._ZN9rocsolver6v33100L10ger_kernelI19rocblas_complex_numIdEiS3_PKPS3_S6_S6_EEvT0_S7_T1_lT2_lS7_lT3_lS7_lT4_lS7_S7_l,"axG",@progbits,_ZN9rocsolver6v33100L10ger_kernelI19rocblas_complex_numIdEiS3_PKPS3_S6_S6_EEvT0_S7_T1_lT2_lS7_lT3_lS7_lT4_lS7_S7_l,comdat
	.globl	_ZN9rocsolver6v33100L10ger_kernelI19rocblas_complex_numIdEiS3_PKPS3_S6_S6_EEvT0_S7_T1_lT2_lS7_lT3_lS7_lT4_lS7_S7_l ; -- Begin function _ZN9rocsolver6v33100L10ger_kernelI19rocblas_complex_numIdEiS3_PKPS3_S6_S6_EEvT0_S7_T1_lT2_lS7_lT3_lS7_lT4_lS7_S7_l
	.p2align	8
	.type	_ZN9rocsolver6v33100L10ger_kernelI19rocblas_complex_numIdEiS3_PKPS3_S6_S6_EEvT0_S7_T1_lT2_lS7_lT3_lS7_lT4_lS7_S7_l,@function
_ZN9rocsolver6v33100L10ger_kernelI19rocblas_complex_numIdEiS3_PKPS3_S6_S6_EEvT0_S7_T1_lT2_lS7_lT3_lS7_lT4_lS7_S7_l: ; @_ZN9rocsolver6v33100L10ger_kernelI19rocblas_complex_numIdEiS3_PKPS3_S6_S6_EEvT0_S7_T1_lT2_lS7_lT3_lS7_lT4_lS7_S7_l
; %bb.0:
	s_load_dword s2, s[4:5], 0x8c
	s_load_dwordx2 s[0:1], s[4:5], 0x0
	s_waitcnt lgkmcnt(0)
	s_lshr_b32 s3, s2, 16
	s_and_b32 s2, s2, 0xffff
	s_mul_i32 s6, s6, s2
	s_mul_i32 s7, s7, s3
	v_add_u32_e32 v2, s6, v0
	v_add_u32_e32 v0, s7, v1
	v_cmp_gt_i32_e32 vcc, s0, v2
	v_cmp_gt_i32_e64 s[0:1], s1, v0
	s_and_b64 s[0:1], vcc, s[0:1]
	s_and_saveexec_b64 s[2:3], s[0:1]
	s_cbranch_execz .LBB3_2
; %bb.1:
	s_load_dwordx4 s[0:3], s[4:5], 0x40
	s_load_dword s14, s[4:5], 0x30
	s_load_dword s15, s[4:5], 0x50
	s_ashr_i32 s9, s8, 31
	s_lshl_b64 s[6:7], s[8:9], 3
	s_waitcnt lgkmcnt(0)
	s_add_u32 s0, s0, s6
	s_addc_u32 s1, s1, s7
	s_load_dwordx2 s[12:13], s[0:1], 0x0
	s_load_dwordx4 s[8:11], s[4:5], 0x20
	s_lshl_b64 s[0:1], s[2:3], 4
	v_mul_lo_u32 v3, v2, s14
	s_waitcnt lgkmcnt(0)
	s_add_u32 s12, s12, s0
	s_addc_u32 s13, s13, s1
	s_add_u32 s0, s8, s6
	s_addc_u32 s1, s9, s7
	s_load_dwordx2 s[0:1], s[0:1], 0x0
	v_ashrrev_i32_e32 v4, 31, v3
	s_lshl_b64 s[2:3], s[10:11], 4
	v_lshlrev_b64 v[3:4], 4, v[3:4]
	s_load_dwordx2 s[8:9], s[4:5], 0x70
	s_waitcnt lgkmcnt(0)
	s_add_u32 s0, s0, s2
	s_addc_u32 s1, s1, s3
	v_mov_b32_e32 v1, s1
	v_add_co_u32_e32 v3, vcc, s0, v3
	v_addc_co_u32_e32 v4, vcc, v1, v4, vcc
	flat_load_dwordx4 v[3:6], v[3:4]
	v_mul_lo_u32 v1, v0, s15
	s_load_dwordx4 s[0:3], s[4:5], 0x60
	v_mul_lo_u32 v11, v2, s8
	v_mov_b32_e32 v7, s13
	v_ashrrev_i32_e32 v2, 31, v1
	v_lshlrev_b64 v[1:2], 4, v[1:2]
	s_waitcnt lgkmcnt(0)
	s_add_u32 s0, s0, s6
	v_add_co_u32_e32 v1, vcc, s12, v1
	v_addc_co_u32_e32 v2, vcc, v7, v2, vcc
	flat_load_dwordx4 v[7:10], v[1:2]
	s_addc_u32 s1, s1, s7
	v_mad_u64_u32 v[0:1], s[8:9], v0, s9, v[11:12]
	s_load_dwordx2 s[0:1], s[0:1], 0x0
	s_lshl_b64 s[2:3], s[2:3], 4
	v_ashrrev_i32_e32 v1, 31, v0
	v_lshlrev_b64 v[0:1], 4, v[0:1]
	s_waitcnt lgkmcnt(0)
	s_add_u32 s0, s0, s2
	s_addc_u32 s1, s1, s3
	v_mov_b32_e32 v2, s1
	v_add_co_u32_e32 v15, vcc, s0, v0
	v_addc_co_u32_e32 v16, vcc, v2, v1, vcc
	flat_load_dwordx4 v[11:14], v[15:16]
	s_load_dwordx4 s[0:3], s[4:5], 0x8
	s_waitcnt vmcnt(0) lgkmcnt(0)
	v_mul_f64 v[0:1], s[0:1], v[5:6]
	v_mul_f64 v[5:6], s[2:3], v[5:6]
	v_fma_f64 v[0:1], s[2:3], v[3:4], v[0:1]
	v_fma_f64 v[2:3], s[0:1], v[3:4], -v[5:6]
	v_mul_f64 v[4:5], v[9:10], v[0:1]
	v_mul_f64 v[0:1], v[7:8], v[0:1]
	v_fma_f64 v[4:5], v[7:8], v[2:3], -v[4:5]
	v_fma_f64 v[2:3], v[9:10], v[2:3], v[0:1]
	v_add_f64 v[0:1], v[11:12], v[4:5]
	v_add_f64 v[2:3], v[2:3], v[13:14]
	flat_store_dwordx4 v[15:16], v[0:3]
.LBB3_2:
	s_endpgm
	.section	.rodata,"a",@progbits
	.p2align	6, 0x0
	.amdhsa_kernel _ZN9rocsolver6v33100L10ger_kernelI19rocblas_complex_numIdEiS3_PKPS3_S6_S6_EEvT0_S7_T1_lT2_lS7_lT3_lS7_lT4_lS7_S7_l
		.amdhsa_group_segment_fixed_size 0
		.amdhsa_private_segment_fixed_size 0
		.amdhsa_kernarg_size 384
		.amdhsa_user_sgpr_count 6
		.amdhsa_user_sgpr_private_segment_buffer 1
		.amdhsa_user_sgpr_dispatch_ptr 0
		.amdhsa_user_sgpr_queue_ptr 0
		.amdhsa_user_sgpr_kernarg_segment_ptr 1
		.amdhsa_user_sgpr_dispatch_id 0
		.amdhsa_user_sgpr_flat_scratch_init 0
		.amdhsa_user_sgpr_private_segment_size 0
		.amdhsa_uses_dynamic_stack 0
		.amdhsa_system_sgpr_private_segment_wavefront_offset 0
		.amdhsa_system_sgpr_workgroup_id_x 1
		.amdhsa_system_sgpr_workgroup_id_y 1
		.amdhsa_system_sgpr_workgroup_id_z 1
		.amdhsa_system_sgpr_workgroup_info 0
		.amdhsa_system_vgpr_workitem_id 1
		.amdhsa_next_free_vgpr 17
		.amdhsa_next_free_sgpr 16
		.amdhsa_reserve_vcc 1
		.amdhsa_reserve_flat_scratch 0
		.amdhsa_float_round_mode_32 0
		.amdhsa_float_round_mode_16_64 0
		.amdhsa_float_denorm_mode_32 3
		.amdhsa_float_denorm_mode_16_64 3
		.amdhsa_dx10_clamp 1
		.amdhsa_ieee_mode 1
		.amdhsa_fp16_overflow 0
		.amdhsa_exception_fp_ieee_invalid_op 0
		.amdhsa_exception_fp_denorm_src 0
		.amdhsa_exception_fp_ieee_div_zero 0
		.amdhsa_exception_fp_ieee_overflow 0
		.amdhsa_exception_fp_ieee_underflow 0
		.amdhsa_exception_fp_ieee_inexact 0
		.amdhsa_exception_int_div_zero 0
	.end_amdhsa_kernel
	.section	.text._ZN9rocsolver6v33100L10ger_kernelI19rocblas_complex_numIdEiS3_PKPS3_S6_S6_EEvT0_S7_T1_lT2_lS7_lT3_lS7_lT4_lS7_S7_l,"axG",@progbits,_ZN9rocsolver6v33100L10ger_kernelI19rocblas_complex_numIdEiS3_PKPS3_S6_S6_EEvT0_S7_T1_lT2_lS7_lT3_lS7_lT4_lS7_S7_l,comdat
.Lfunc_end3:
	.size	_ZN9rocsolver6v33100L10ger_kernelI19rocblas_complex_numIdEiS3_PKPS3_S6_S6_EEvT0_S7_T1_lT2_lS7_lT3_lS7_lT4_lS7_S7_l, .Lfunc_end3-_ZN9rocsolver6v33100L10ger_kernelI19rocblas_complex_numIdEiS3_PKPS3_S6_S6_EEvT0_S7_T1_lT2_lS7_lT3_lS7_lT4_lS7_S7_l
                                        ; -- End function
	.set _ZN9rocsolver6v33100L10ger_kernelI19rocblas_complex_numIdEiS3_PKPS3_S6_S6_EEvT0_S7_T1_lT2_lS7_lT3_lS7_lT4_lS7_S7_l.num_vgpr, 17
	.set _ZN9rocsolver6v33100L10ger_kernelI19rocblas_complex_numIdEiS3_PKPS3_S6_S6_EEvT0_S7_T1_lT2_lS7_lT3_lS7_lT4_lS7_S7_l.num_agpr, 0
	.set _ZN9rocsolver6v33100L10ger_kernelI19rocblas_complex_numIdEiS3_PKPS3_S6_S6_EEvT0_S7_T1_lT2_lS7_lT3_lS7_lT4_lS7_S7_l.numbered_sgpr, 16
	.set _ZN9rocsolver6v33100L10ger_kernelI19rocblas_complex_numIdEiS3_PKPS3_S6_S6_EEvT0_S7_T1_lT2_lS7_lT3_lS7_lT4_lS7_S7_l.num_named_barrier, 0
	.set _ZN9rocsolver6v33100L10ger_kernelI19rocblas_complex_numIdEiS3_PKPS3_S6_S6_EEvT0_S7_T1_lT2_lS7_lT3_lS7_lT4_lS7_S7_l.private_seg_size, 0
	.set _ZN9rocsolver6v33100L10ger_kernelI19rocblas_complex_numIdEiS3_PKPS3_S6_S6_EEvT0_S7_T1_lT2_lS7_lT3_lS7_lT4_lS7_S7_l.uses_vcc, 1
	.set _ZN9rocsolver6v33100L10ger_kernelI19rocblas_complex_numIdEiS3_PKPS3_S6_S6_EEvT0_S7_T1_lT2_lS7_lT3_lS7_lT4_lS7_S7_l.uses_flat_scratch, 0
	.set _ZN9rocsolver6v33100L10ger_kernelI19rocblas_complex_numIdEiS3_PKPS3_S6_S6_EEvT0_S7_T1_lT2_lS7_lT3_lS7_lT4_lS7_S7_l.has_dyn_sized_stack, 0
	.set _ZN9rocsolver6v33100L10ger_kernelI19rocblas_complex_numIdEiS3_PKPS3_S6_S6_EEvT0_S7_T1_lT2_lS7_lT3_lS7_lT4_lS7_S7_l.has_recursion, 0
	.set _ZN9rocsolver6v33100L10ger_kernelI19rocblas_complex_numIdEiS3_PKPS3_S6_S6_EEvT0_S7_T1_lT2_lS7_lT3_lS7_lT4_lS7_S7_l.has_indirect_call, 0
	.section	.AMDGPU.csdata,"",@progbits
; Kernel info:
; codeLenInByte = 464
; TotalNumSgprs: 20
; NumVgprs: 17
; ScratchSize: 0
; MemoryBound: 0
; FloatMode: 240
; IeeeMode: 1
; LDSByteSize: 0 bytes/workgroup (compile time only)
; SGPRBlocks: 2
; VGPRBlocks: 4
; NumSGPRsForWavesPerEU: 20
; NumVGPRsForWavesPerEU: 17
; Occupancy: 10
; WaveLimiterHint : 1
; COMPUTE_PGM_RSRC2:SCRATCH_EN: 0
; COMPUTE_PGM_RSRC2:USER_SGPR: 6
; COMPUTE_PGM_RSRC2:TRAP_HANDLER: 0
; COMPUTE_PGM_RSRC2:TGID_X_EN: 1
; COMPUTE_PGM_RSRC2:TGID_Y_EN: 1
; COMPUTE_PGM_RSRC2:TGID_Z_EN: 1
; COMPUTE_PGM_RSRC2:TIDIG_COMP_CNT: 1
	.section	.text._ZN9rocsolver6v33100L10ger_kernelI19rocblas_complex_numIdElPKS3_PS3_S6_S6_EEvT0_S7_T1_lT2_lS7_lT3_lS7_lT4_lS7_S7_l,"axG",@progbits,_ZN9rocsolver6v33100L10ger_kernelI19rocblas_complex_numIdElPKS3_PS3_S6_S6_EEvT0_S7_T1_lT2_lS7_lT3_lS7_lT4_lS7_S7_l,comdat
	.globl	_ZN9rocsolver6v33100L10ger_kernelI19rocblas_complex_numIdElPKS3_PS3_S6_S6_EEvT0_S7_T1_lT2_lS7_lT3_lS7_lT4_lS7_S7_l ; -- Begin function _ZN9rocsolver6v33100L10ger_kernelI19rocblas_complex_numIdElPKS3_PS3_S6_S6_EEvT0_S7_T1_lT2_lS7_lT3_lS7_lT4_lS7_S7_l
	.p2align	8
	.type	_ZN9rocsolver6v33100L10ger_kernelI19rocblas_complex_numIdElPKS3_PS3_S6_S6_EEvT0_S7_T1_lT2_lS7_lT3_lS7_lT4_lS7_S7_l,@function
_ZN9rocsolver6v33100L10ger_kernelI19rocblas_complex_numIdElPKS3_PS3_S6_S6_EEvT0_S7_T1_lT2_lS7_lT3_lS7_lT4_lS7_S7_l: ; @_ZN9rocsolver6v33100L10ger_kernelI19rocblas_complex_numIdElPKS3_PS3_S6_S6_EEvT0_S7_T1_lT2_lS7_lT3_lS7_lT4_lS7_S7_l
; %bb.0:
	s_load_dword s0, s[4:5], 0x94
	s_load_dwordx16 s[12:27], s[4:5], 0x0
	v_mov_b32_e32 v2, v0
	v_mov_b32_e32 v3, 0
	;; [unrolled: 1-line block ×3, first 2 shown]
	s_waitcnt lgkmcnt(0)
	s_lshr_b32 s2, s0, 16
	s_and_b32 s0, s0, 0xffff
	v_mad_u64_u32 v[4:5], s[0:1], s0, v0, v[2:3]
	v_mov_b32_e32 v2, v3
	v_mov_b32_e32 v0, s7
	v_mad_u64_u32 v[0:1], s[0:1], s2, v0, v[1:2]
	v_cmp_gt_i64_e32 vcc, s[12:13], v[4:5]
	v_cmp_gt_i64_e64 s[0:1], s[14:15], v[0:1]
	s_and_b64 s[0:1], vcc, s[0:1]
	s_and_saveexec_b64 s[2:3], s[0:1]
	s_cbranch_execz .LBB4_2
; %bb.1:
	s_load_dwordx16 s[36:51], s[4:5], 0x40
	s_load_dwordx2 s[0:1], s[4:5], 0x80
	v_mul_lo_u32 v6, v5, s24
	v_mul_lo_u32 v7, v4, s25
	s_waitcnt lgkmcnt(0)
	s_mul_i32 s3, s43, s8
	s_mul_hi_u32 s4, s42, s8
	s_mul_i32 s2, s42, s8
	s_add_i32 s3, s4, s3
	s_lshl_b64 s[2:3], s[2:3], 4
	s_add_u32 s4, s36, s2
	s_addc_u32 s5, s37, s3
	s_lshl_b64 s[2:3], s[38:39], 4
	s_add_u32 s4, s4, s2
	s_addc_u32 s5, s5, s3
	s_mul_i32 s2, s27, s8
	s_mul_hi_u32 s3, s26, s8
	s_add_i32 s3, s3, s2
	s_mul_i32 s2, s26, s8
	s_lshl_b64 s[2:3], s[2:3], 4
	s_add_u32 s6, s20, s2
	s_addc_u32 s7, s21, s3
	s_lshl_b64 s[2:3], s[22:23], 4
	s_add_u32 s6, s6, s2
	s_mul_i32 s1, s1, s8
	s_mul_hi_u32 s2, s0, s8
	s_addc_u32 s7, s7, s3
	s_add_i32 s1, s2, s1
	v_mad_u64_u32 v[2:3], s[2:3], v4, s24, 0
	v_mul_lo_u32 v12, v1, s40
	v_mul_lo_u32 v13, v0, s41
	v_add3_u32 v3, v3, v7, v6
	v_lshlrev_b64 v[2:3], 4, v[2:3]
	v_mov_b32_e32 v6, s7
	v_add_co_u32_e32 v2, vcc, s6, v2
	v_addc_co_u32_e32 v3, vcc, v6, v3, vcc
	global_load_dwordx4 v[6:9], v[2:3], off
	v_mad_u64_u32 v[10:11], s[2:3], v0, s40, 0
	v_mul_lo_u32 v5, v5, s48
	v_mul_lo_u32 v14, v4, s49
	v_add3_u32 v11, v11, v13, v12
	v_lshlrev_b64 v[2:3], 4, v[10:11]
	v_mov_b32_e32 v10, s5
	v_add_co_u32_e32 v2, vcc, s4, v2
	v_addc_co_u32_e32 v3, vcc, v10, v3, vcc
	global_load_dwordx4 v[10:13], v[2:3], off
	v_mad_u64_u32 v[2:3], s[2:3], v4, s48, 0
	s_mul_i32 s0, s0, s8
	s_lshl_b64 s[0:1], s[0:1], 4
	v_mul_lo_u32 v4, v1, s50
	v_mul_lo_u32 v15, v0, s51
	v_mad_u64_u32 v[0:1], s[2:3], v0, s50, 0
	s_add_u32 s9, s44, s0
	s_addc_u32 s10, s45, s1
	s_lshl_b64 s[0:1], s[46:47], 4
	v_add3_u32 v3, v3, v14, v5
	s_add_u32 s0, s9, s0
	v_lshlrev_b64 v[2:3], 4, v[2:3]
	s_addc_u32 s1, s10, s1
	v_add3_u32 v1, v1, v15, v4
	v_mov_b32_e32 v4, s1
	v_add_co_u32_e32 v2, vcc, s0, v2
	v_lshlrev_b64 v[0:1], 4, v[0:1]
	v_addc_co_u32_e32 v3, vcc, v4, v3, vcc
	v_add_co_u32_e32 v4, vcc, v2, v0
	v_addc_co_u32_e32 v5, vcc, v3, v1, vcc
	global_load_dwordx4 v[0:3], v[4:5], off
	s_mul_i32 s0, s8, s18
	s_ashr_i32 s1, s0, 31
	s_lshl_b64 s[0:1], s[0:1], 4
	s_add_u32 s4, s16, s0
	s_addc_u32 s5, s17, s1
	s_load_dwordx4 s[0:3], s[4:5], 0x0
	s_waitcnt vmcnt(2) lgkmcnt(0)
	v_mul_f64 v[14:15], s[0:1], v[8:9]
	v_mul_f64 v[8:9], s[2:3], v[8:9]
	v_fma_f64 v[14:15], s[2:3], v[6:7], v[14:15]
	v_fma_f64 v[6:7], s[0:1], v[6:7], -v[8:9]
	s_waitcnt vmcnt(1)
	v_mul_f64 v[8:9], v[12:13], v[14:15]
	v_mul_f64 v[14:15], v[10:11], v[14:15]
	v_fma_f64 v[8:9], v[10:11], v[6:7], -v[8:9]
	v_fma_f64 v[6:7], v[12:13], v[6:7], v[14:15]
	s_waitcnt vmcnt(0)
	v_add_f64 v[0:1], v[0:1], v[8:9]
	v_add_f64 v[2:3], v[6:7], v[2:3]
	global_store_dwordx4 v[4:5], v[0:3], off
.LBB4_2:
	s_endpgm
	.section	.rodata,"a",@progbits
	.p2align	6, 0x0
	.amdhsa_kernel _ZN9rocsolver6v33100L10ger_kernelI19rocblas_complex_numIdElPKS3_PS3_S6_S6_EEvT0_S7_T1_lT2_lS7_lT3_lS7_lT4_lS7_S7_l
		.amdhsa_group_segment_fixed_size 0
		.amdhsa_private_segment_fixed_size 0
		.amdhsa_kernarg_size 392
		.amdhsa_user_sgpr_count 6
		.amdhsa_user_sgpr_private_segment_buffer 1
		.amdhsa_user_sgpr_dispatch_ptr 0
		.amdhsa_user_sgpr_queue_ptr 0
		.amdhsa_user_sgpr_kernarg_segment_ptr 1
		.amdhsa_user_sgpr_dispatch_id 0
		.amdhsa_user_sgpr_flat_scratch_init 0
		.amdhsa_user_sgpr_private_segment_size 0
		.amdhsa_uses_dynamic_stack 0
		.amdhsa_system_sgpr_private_segment_wavefront_offset 0
		.amdhsa_system_sgpr_workgroup_id_x 1
		.amdhsa_system_sgpr_workgroup_id_y 1
		.amdhsa_system_sgpr_workgroup_id_z 1
		.amdhsa_system_sgpr_workgroup_info 0
		.amdhsa_system_vgpr_workitem_id 1
		.amdhsa_next_free_vgpr 16
		.amdhsa_next_free_sgpr 52
		.amdhsa_reserve_vcc 1
		.amdhsa_reserve_flat_scratch 0
		.amdhsa_float_round_mode_32 0
		.amdhsa_float_round_mode_16_64 0
		.amdhsa_float_denorm_mode_32 3
		.amdhsa_float_denorm_mode_16_64 3
		.amdhsa_dx10_clamp 1
		.amdhsa_ieee_mode 1
		.amdhsa_fp16_overflow 0
		.amdhsa_exception_fp_ieee_invalid_op 0
		.amdhsa_exception_fp_denorm_src 0
		.amdhsa_exception_fp_ieee_div_zero 0
		.amdhsa_exception_fp_ieee_overflow 0
		.amdhsa_exception_fp_ieee_underflow 0
		.amdhsa_exception_fp_ieee_inexact 0
		.amdhsa_exception_int_div_zero 0
	.end_amdhsa_kernel
	.section	.text._ZN9rocsolver6v33100L10ger_kernelI19rocblas_complex_numIdElPKS3_PS3_S6_S6_EEvT0_S7_T1_lT2_lS7_lT3_lS7_lT4_lS7_S7_l,"axG",@progbits,_ZN9rocsolver6v33100L10ger_kernelI19rocblas_complex_numIdElPKS3_PS3_S6_S6_EEvT0_S7_T1_lT2_lS7_lT3_lS7_lT4_lS7_S7_l,comdat
.Lfunc_end4:
	.size	_ZN9rocsolver6v33100L10ger_kernelI19rocblas_complex_numIdElPKS3_PS3_S6_S6_EEvT0_S7_T1_lT2_lS7_lT3_lS7_lT4_lS7_S7_l, .Lfunc_end4-_ZN9rocsolver6v33100L10ger_kernelI19rocblas_complex_numIdElPKS3_PS3_S6_S6_EEvT0_S7_T1_lT2_lS7_lT3_lS7_lT4_lS7_S7_l
                                        ; -- End function
	.set _ZN9rocsolver6v33100L10ger_kernelI19rocblas_complex_numIdElPKS3_PS3_S6_S6_EEvT0_S7_T1_lT2_lS7_lT3_lS7_lT4_lS7_S7_l.num_vgpr, 16
	.set _ZN9rocsolver6v33100L10ger_kernelI19rocblas_complex_numIdElPKS3_PS3_S6_S6_EEvT0_S7_T1_lT2_lS7_lT3_lS7_lT4_lS7_S7_l.num_agpr, 0
	.set _ZN9rocsolver6v33100L10ger_kernelI19rocblas_complex_numIdElPKS3_PS3_S6_S6_EEvT0_S7_T1_lT2_lS7_lT3_lS7_lT4_lS7_S7_l.numbered_sgpr, 52
	.set _ZN9rocsolver6v33100L10ger_kernelI19rocblas_complex_numIdElPKS3_PS3_S6_S6_EEvT0_S7_T1_lT2_lS7_lT3_lS7_lT4_lS7_S7_l.num_named_barrier, 0
	.set _ZN9rocsolver6v33100L10ger_kernelI19rocblas_complex_numIdElPKS3_PS3_S6_S6_EEvT0_S7_T1_lT2_lS7_lT3_lS7_lT4_lS7_S7_l.private_seg_size, 0
	.set _ZN9rocsolver6v33100L10ger_kernelI19rocblas_complex_numIdElPKS3_PS3_S6_S6_EEvT0_S7_T1_lT2_lS7_lT3_lS7_lT4_lS7_S7_l.uses_vcc, 1
	.set _ZN9rocsolver6v33100L10ger_kernelI19rocblas_complex_numIdElPKS3_PS3_S6_S6_EEvT0_S7_T1_lT2_lS7_lT3_lS7_lT4_lS7_S7_l.uses_flat_scratch, 0
	.set _ZN9rocsolver6v33100L10ger_kernelI19rocblas_complex_numIdElPKS3_PS3_S6_S6_EEvT0_S7_T1_lT2_lS7_lT3_lS7_lT4_lS7_S7_l.has_dyn_sized_stack, 0
	.set _ZN9rocsolver6v33100L10ger_kernelI19rocblas_complex_numIdElPKS3_PS3_S6_S6_EEvT0_S7_T1_lT2_lS7_lT3_lS7_lT4_lS7_S7_l.has_recursion, 0
	.set _ZN9rocsolver6v33100L10ger_kernelI19rocblas_complex_numIdElPKS3_PS3_S6_S6_EEvT0_S7_T1_lT2_lS7_lT3_lS7_lT4_lS7_S7_l.has_indirect_call, 0
	.section	.AMDGPU.csdata,"",@progbits
; Kernel info:
; codeLenInByte = 592
; TotalNumSgprs: 56
; NumVgprs: 16
; ScratchSize: 0
; MemoryBound: 0
; FloatMode: 240
; IeeeMode: 1
; LDSByteSize: 0 bytes/workgroup (compile time only)
; SGPRBlocks: 6
; VGPRBlocks: 3
; NumSGPRsForWavesPerEU: 56
; NumVGPRsForWavesPerEU: 16
; Occupancy: 10
; WaveLimiterHint : 0
; COMPUTE_PGM_RSRC2:SCRATCH_EN: 0
; COMPUTE_PGM_RSRC2:USER_SGPR: 6
; COMPUTE_PGM_RSRC2:TRAP_HANDLER: 0
; COMPUTE_PGM_RSRC2:TGID_X_EN: 1
; COMPUTE_PGM_RSRC2:TGID_Y_EN: 1
; COMPUTE_PGM_RSRC2:TGID_Z_EN: 1
; COMPUTE_PGM_RSRC2:TIDIG_COMP_CNT: 1
	.section	.text._ZN9rocsolver6v33100L10ger_kernelI19rocblas_complex_numIdElS3_PS3_S4_S4_EEvT0_S5_T1_lT2_lS5_lT3_lS5_lT4_lS5_S5_l,"axG",@progbits,_ZN9rocsolver6v33100L10ger_kernelI19rocblas_complex_numIdElS3_PS3_S4_S4_EEvT0_S5_T1_lT2_lS5_lT3_lS5_lT4_lS5_S5_l,comdat
	.globl	_ZN9rocsolver6v33100L10ger_kernelI19rocblas_complex_numIdElS3_PS3_S4_S4_EEvT0_S5_T1_lT2_lS5_lT3_lS5_lT4_lS5_S5_l ; -- Begin function _ZN9rocsolver6v33100L10ger_kernelI19rocblas_complex_numIdElS3_PS3_S4_S4_EEvT0_S5_T1_lT2_lS5_lT3_lS5_lT4_lS5_S5_l
	.p2align	8
	.type	_ZN9rocsolver6v33100L10ger_kernelI19rocblas_complex_numIdElS3_PS3_S4_S4_EEvT0_S5_T1_lT2_lS5_lT3_lS5_lT4_lS5_S5_l,@function
_ZN9rocsolver6v33100L10ger_kernelI19rocblas_complex_numIdElS3_PS3_S4_S4_EEvT0_S5_T1_lT2_lS5_lT3_lS5_lT4_lS5_S5_l: ; @_ZN9rocsolver6v33100L10ger_kernelI19rocblas_complex_numIdElS3_PS3_S4_S4_EEvT0_S5_T1_lT2_lS5_lT3_lS5_lT4_lS5_S5_l
; %bb.0:
	s_load_dword s9, s[4:5], 0x9c
	s_load_dwordx4 s[0:3], s[4:5], 0x0
	v_mov_b32_e32 v2, v0
	v_mov_b32_e32 v3, 0
	;; [unrolled: 1-line block ×3, first 2 shown]
	s_waitcnt lgkmcnt(0)
	s_lshr_b32 s12, s9, 16
	s_and_b32 s9, s9, 0xffff
	v_mad_u64_u32 v[4:5], s[10:11], s9, v0, v[2:3]
	v_mov_b32_e32 v2, v3
	v_mov_b32_e32 v0, s7
	v_mad_u64_u32 v[0:1], s[6:7], s12, v0, v[1:2]
	v_cmp_gt_i64_e32 vcc, s[0:1], v[4:5]
	v_cmp_gt_i64_e64 s[0:1], s[2:3], v[0:1]
	s_and_b64 s[0:1], vcc, s[0:1]
	s_and_saveexec_b64 s[2:3], s[0:1]
	s_cbranch_execz .LBB5_2
; %bb.1:
	s_load_dwordx16 s[12:27], s[4:5], 0x28
	s_load_dwordx8 s[36:43], s[4:5], 0x68
	s_load_dwordx2 s[0:1], s[4:5], 0x88
	s_waitcnt lgkmcnt(0)
	s_mul_i32 s3, s27, s8
	s_mul_hi_u32 s6, s26, s8
	s_mul_i32 s2, s26, s8
	s_add_i32 s3, s6, s3
	s_lshl_b64 s[2:3], s[2:3], 4
	s_add_u32 s6, s20, s2
	s_addc_u32 s7, s21, s3
	s_lshl_b64 s[2:3], s[22:23], 4
	s_add_u32 s6, s6, s2
	s_addc_u32 s7, s7, s3
	s_mul_i32 s2, s19, s8
	s_mul_hi_u32 s3, s18, s8
	s_add_i32 s3, s3, s2
	s_mul_i32 s2, s18, s8
	s_lshl_b64 s[2:3], s[2:3], 4
	s_add_u32 s9, s12, s2
	s_addc_u32 s10, s13, s3
	s_lshl_b64 s[2:3], s[14:15], 4
	s_add_u32 s9, s9, s2
	s_mul_i32 s1, s1, s8
	s_mul_hi_u32 s2, s0, s8
	s_addc_u32 s10, s10, s3
	s_add_i32 s1, s2, s1
	v_mul_lo_u32 v6, v5, s16
	v_mul_lo_u32 v7, v4, s17
	v_mad_u64_u32 v[2:3], s[2:3], v4, s16, 0
	v_mul_lo_u32 v12, v1, s24
	v_mul_lo_u32 v13, v0, s25
	v_add3_u32 v3, v3, v7, v6
	v_lshlrev_b64 v[2:3], 4, v[2:3]
	v_mov_b32_e32 v6, s10
	v_add_co_u32_e32 v2, vcc, s9, v2
	v_addc_co_u32_e32 v3, vcc, v6, v3, vcc
	global_load_dwordx4 v[6:9], v[2:3], off
	v_mad_u64_u32 v[10:11], s[2:3], v0, s24, 0
	v_mul_lo_u32 v5, v5, s40
	v_mul_lo_u32 v14, v4, s41
	v_add3_u32 v11, v11, v13, v12
	v_lshlrev_b64 v[2:3], 4, v[10:11]
	v_mov_b32_e32 v10, s7
	v_add_co_u32_e32 v2, vcc, s6, v2
	v_addc_co_u32_e32 v3, vcc, v10, v3, vcc
	global_load_dwordx4 v[10:13], v[2:3], off
	v_mad_u64_u32 v[2:3], s[2:3], v4, s40, 0
	s_mul_i32 s0, s0, s8
	s_lshl_b64 s[0:1], s[0:1], 4
	v_mul_lo_u32 v4, v1, s42
	v_mul_lo_u32 v15, v0, s43
	v_mad_u64_u32 v[0:1], s[2:3], v0, s42, 0
	s_add_u32 s8, s36, s0
	s_addc_u32 s11, s37, s1
	s_lshl_b64 s[0:1], s[38:39], 4
	v_add3_u32 v3, v3, v14, v5
	s_add_u32 s0, s8, s0
	v_lshlrev_b64 v[2:3], 4, v[2:3]
	s_addc_u32 s1, s11, s1
	v_add3_u32 v1, v1, v15, v4
	v_mov_b32_e32 v4, s1
	v_add_co_u32_e32 v2, vcc, s0, v2
	v_lshlrev_b64 v[0:1], 4, v[0:1]
	v_addc_co_u32_e32 v3, vcc, v4, v3, vcc
	v_add_co_u32_e32 v4, vcc, v2, v0
	v_addc_co_u32_e32 v5, vcc, v3, v1, vcc
	global_load_dwordx4 v[0:3], v[4:5], off
	s_load_dwordx4 s[0:3], s[4:5], 0x10
	s_waitcnt vmcnt(2) lgkmcnt(0)
	v_mul_f64 v[14:15], s[0:1], v[8:9]
	v_mul_f64 v[8:9], s[2:3], v[8:9]
	v_fma_f64 v[14:15], s[2:3], v[6:7], v[14:15]
	v_fma_f64 v[6:7], s[0:1], v[6:7], -v[8:9]
	s_waitcnt vmcnt(1)
	v_mul_f64 v[8:9], v[12:13], v[14:15]
	v_mul_f64 v[14:15], v[10:11], v[14:15]
	v_fma_f64 v[8:9], v[10:11], v[6:7], -v[8:9]
	v_fma_f64 v[6:7], v[12:13], v[6:7], v[14:15]
	s_waitcnt vmcnt(0)
	v_add_f64 v[0:1], v[0:1], v[8:9]
	v_add_f64 v[2:3], v[6:7], v[2:3]
	global_store_dwordx4 v[4:5], v[0:3], off
.LBB5_2:
	s_endpgm
	.section	.rodata,"a",@progbits
	.p2align	6, 0x0
	.amdhsa_kernel _ZN9rocsolver6v33100L10ger_kernelI19rocblas_complex_numIdElS3_PS3_S4_S4_EEvT0_S5_T1_lT2_lS5_lT3_lS5_lT4_lS5_S5_l
		.amdhsa_group_segment_fixed_size 0
		.amdhsa_private_segment_fixed_size 0
		.amdhsa_kernarg_size 400
		.amdhsa_user_sgpr_count 6
		.amdhsa_user_sgpr_private_segment_buffer 1
		.amdhsa_user_sgpr_dispatch_ptr 0
		.amdhsa_user_sgpr_queue_ptr 0
		.amdhsa_user_sgpr_kernarg_segment_ptr 1
		.amdhsa_user_sgpr_dispatch_id 0
		.amdhsa_user_sgpr_flat_scratch_init 0
		.amdhsa_user_sgpr_private_segment_size 0
		.amdhsa_uses_dynamic_stack 0
		.amdhsa_system_sgpr_private_segment_wavefront_offset 0
		.amdhsa_system_sgpr_workgroup_id_x 1
		.amdhsa_system_sgpr_workgroup_id_y 1
		.amdhsa_system_sgpr_workgroup_id_z 1
		.amdhsa_system_sgpr_workgroup_info 0
		.amdhsa_system_vgpr_workitem_id 1
		.amdhsa_next_free_vgpr 16
		.amdhsa_next_free_sgpr 44
		.amdhsa_reserve_vcc 1
		.amdhsa_reserve_flat_scratch 0
		.amdhsa_float_round_mode_32 0
		.amdhsa_float_round_mode_16_64 0
		.amdhsa_float_denorm_mode_32 3
		.amdhsa_float_denorm_mode_16_64 3
		.amdhsa_dx10_clamp 1
		.amdhsa_ieee_mode 1
		.amdhsa_fp16_overflow 0
		.amdhsa_exception_fp_ieee_invalid_op 0
		.amdhsa_exception_fp_denorm_src 0
		.amdhsa_exception_fp_ieee_div_zero 0
		.amdhsa_exception_fp_ieee_overflow 0
		.amdhsa_exception_fp_ieee_underflow 0
		.amdhsa_exception_fp_ieee_inexact 0
		.amdhsa_exception_int_div_zero 0
	.end_amdhsa_kernel
	.section	.text._ZN9rocsolver6v33100L10ger_kernelI19rocblas_complex_numIdElS3_PS3_S4_S4_EEvT0_S5_T1_lT2_lS5_lT3_lS5_lT4_lS5_S5_l,"axG",@progbits,_ZN9rocsolver6v33100L10ger_kernelI19rocblas_complex_numIdElS3_PS3_S4_S4_EEvT0_S5_T1_lT2_lS5_lT3_lS5_lT4_lS5_S5_l,comdat
.Lfunc_end5:
	.size	_ZN9rocsolver6v33100L10ger_kernelI19rocblas_complex_numIdElS3_PS3_S4_S4_EEvT0_S5_T1_lT2_lS5_lT3_lS5_lT4_lS5_S5_l, .Lfunc_end5-_ZN9rocsolver6v33100L10ger_kernelI19rocblas_complex_numIdElS3_PS3_S4_S4_EEvT0_S5_T1_lT2_lS5_lT3_lS5_lT4_lS5_S5_l
                                        ; -- End function
	.set _ZN9rocsolver6v33100L10ger_kernelI19rocblas_complex_numIdElS3_PS3_S4_S4_EEvT0_S5_T1_lT2_lS5_lT3_lS5_lT4_lS5_S5_l.num_vgpr, 16
	.set _ZN9rocsolver6v33100L10ger_kernelI19rocblas_complex_numIdElS3_PS3_S4_S4_EEvT0_S5_T1_lT2_lS5_lT3_lS5_lT4_lS5_S5_l.num_agpr, 0
	.set _ZN9rocsolver6v33100L10ger_kernelI19rocblas_complex_numIdElS3_PS3_S4_S4_EEvT0_S5_T1_lT2_lS5_lT3_lS5_lT4_lS5_S5_l.numbered_sgpr, 44
	.set _ZN9rocsolver6v33100L10ger_kernelI19rocblas_complex_numIdElS3_PS3_S4_S4_EEvT0_S5_T1_lT2_lS5_lT3_lS5_lT4_lS5_S5_l.num_named_barrier, 0
	.set _ZN9rocsolver6v33100L10ger_kernelI19rocblas_complex_numIdElS3_PS3_S4_S4_EEvT0_S5_T1_lT2_lS5_lT3_lS5_lT4_lS5_S5_l.private_seg_size, 0
	.set _ZN9rocsolver6v33100L10ger_kernelI19rocblas_complex_numIdElS3_PS3_S4_S4_EEvT0_S5_T1_lT2_lS5_lT3_lS5_lT4_lS5_S5_l.uses_vcc, 1
	.set _ZN9rocsolver6v33100L10ger_kernelI19rocblas_complex_numIdElS3_PS3_S4_S4_EEvT0_S5_T1_lT2_lS5_lT3_lS5_lT4_lS5_S5_l.uses_flat_scratch, 0
	.set _ZN9rocsolver6v33100L10ger_kernelI19rocblas_complex_numIdElS3_PS3_S4_S4_EEvT0_S5_T1_lT2_lS5_lT3_lS5_lT4_lS5_S5_l.has_dyn_sized_stack, 0
	.set _ZN9rocsolver6v33100L10ger_kernelI19rocblas_complex_numIdElS3_PS3_S4_S4_EEvT0_S5_T1_lT2_lS5_lT3_lS5_lT4_lS5_S5_l.has_recursion, 0
	.set _ZN9rocsolver6v33100L10ger_kernelI19rocblas_complex_numIdElS3_PS3_S4_S4_EEvT0_S5_T1_lT2_lS5_lT3_lS5_lT4_lS5_S5_l.has_indirect_call, 0
	.section	.AMDGPU.csdata,"",@progbits
; Kernel info:
; codeLenInByte = 580
; TotalNumSgprs: 48
; NumVgprs: 16
; ScratchSize: 0
; MemoryBound: 0
; FloatMode: 240
; IeeeMode: 1
; LDSByteSize: 0 bytes/workgroup (compile time only)
; SGPRBlocks: 5
; VGPRBlocks: 3
; NumSGPRsForWavesPerEU: 48
; NumVGPRsForWavesPerEU: 16
; Occupancy: 10
; WaveLimiterHint : 1
; COMPUTE_PGM_RSRC2:SCRATCH_EN: 0
; COMPUTE_PGM_RSRC2:USER_SGPR: 6
; COMPUTE_PGM_RSRC2:TRAP_HANDLER: 0
; COMPUTE_PGM_RSRC2:TGID_X_EN: 1
; COMPUTE_PGM_RSRC2:TGID_Y_EN: 1
; COMPUTE_PGM_RSRC2:TGID_Z_EN: 1
; COMPUTE_PGM_RSRC2:TIDIG_COMP_CNT: 1
	.section	.text._ZN9rocsolver6v33100L10ger_kernelI19rocblas_complex_numIdElPKS3_PKPS3_S8_S8_EEvT0_S9_T1_lT2_lS9_lT3_lS9_lT4_lS9_S9_l,"axG",@progbits,_ZN9rocsolver6v33100L10ger_kernelI19rocblas_complex_numIdElPKS3_PKPS3_S8_S8_EEvT0_S9_T1_lT2_lS9_lT3_lS9_lT4_lS9_S9_l,comdat
	.globl	_ZN9rocsolver6v33100L10ger_kernelI19rocblas_complex_numIdElPKS3_PKPS3_S8_S8_EEvT0_S9_T1_lT2_lS9_lT3_lS9_lT4_lS9_S9_l ; -- Begin function _ZN9rocsolver6v33100L10ger_kernelI19rocblas_complex_numIdElPKS3_PKPS3_S8_S8_EEvT0_S9_T1_lT2_lS9_lT3_lS9_lT4_lS9_S9_l
	.p2align	8
	.type	_ZN9rocsolver6v33100L10ger_kernelI19rocblas_complex_numIdElPKS3_PKPS3_S8_S8_EEvT0_S9_T1_lT2_lS9_lT3_lS9_lT4_lS9_S9_l,@function
_ZN9rocsolver6v33100L10ger_kernelI19rocblas_complex_numIdElPKS3_PKPS3_S8_S8_EEvT0_S9_T1_lT2_lS9_lT3_lS9_lT4_lS9_S9_l: ; @_ZN9rocsolver6v33100L10ger_kernelI19rocblas_complex_numIdElPKS3_PKPS3_S8_S8_EEvT0_S9_T1_lT2_lS9_lT3_lS9_lT4_lS9_S9_l
; %bb.0:
	s_load_dword s0, s[4:5], 0x94
	s_load_dwordx8 s[12:19], s[4:5], 0x0
	v_mov_b32_e32 v2, v0
	v_mov_b32_e32 v3, 0
	v_mov_b32_e32 v0, s6
	s_waitcnt lgkmcnt(0)
	s_lshr_b32 s2, s0, 16
	s_and_b32 s0, s0, 0xffff
	v_mad_u64_u32 v[4:5], s[0:1], s0, v0, v[2:3]
	v_mov_b32_e32 v2, v3
	v_mov_b32_e32 v0, s7
	v_mad_u64_u32 v[0:1], s[0:1], s2, v0, v[1:2]
	v_cmp_gt_i64_e32 vcc, s[12:13], v[4:5]
	v_cmp_gt_i64_e64 s[0:1], s[14:15], v[0:1]
	s_and_b64 s[0:1], vcc, s[0:1]
	s_and_saveexec_b64 s[2:3], s[0:1]
	s_cbranch_execz .LBB6_2
; %bb.1:
	s_load_dwordx4 s[0:3], s[4:5], 0x40
	s_load_dwordx8 s[36:43], s[4:5], 0x20
	s_load_dwordx2 s[6:7], s[4:5], 0x50
	s_mov_b32 s9, 0
	s_lshl_b64 s[10:11], s[8:9], 3
	s_waitcnt lgkmcnt(0)
	s_add_u32 s0, s0, s10
	s_addc_u32 s1, s1, s11
	s_load_dwordx2 s[12:13], s[0:1], 0x0
	s_load_dwordx8 s[20:27], s[4:5], 0x60
	s_lshl_b64 s[0:1], s[2:3], 4
	v_mul_lo_u32 v6, v5, s40
	v_mul_lo_u32 v7, v4, s41
	s_waitcnt lgkmcnt(0)
	s_add_u32 s9, s12, s0
	s_addc_u32 s12, s13, s1
	s_add_u32 s0, s36, s10
	s_addc_u32 s1, s37, s11
	s_load_dwordx2 s[0:1], s[0:1], 0x0
	v_mad_u64_u32 v[2:3], s[2:3], v4, s40, 0
	s_lshl_b64 s[2:3], s[38:39], 4
	v_mul_lo_u32 v12, v1, s6
	v_add3_u32 v3, v3, v7, v6
	s_waitcnt lgkmcnt(0)
	s_add_u32 s13, s0, s2
	v_lshlrev_b64 v[2:3], 4, v[2:3]
	s_addc_u32 s4, s1, s3
	v_mov_b32_e32 v6, s4
	v_add_co_u32_e32 v2, vcc, s13, v2
	v_addc_co_u32_e32 v3, vcc, v6, v3, vcc
	flat_load_dwordx4 v[6:9], v[2:3]
	v_mul_lo_u32 v13, v0, s7
	v_mad_u64_u32 v[10:11], s[4:5], v0, s6, 0
	s_add_u32 s0, s20, s10
	s_addc_u32 s1, s21, s11
	v_add3_u32 v11, v11, v13, v12
	v_lshlrev_b64 v[2:3], 4, v[10:11]
	v_mov_b32_e32 v10, s12
	v_add_co_u32_e32 v2, vcc, s9, v2
	v_addc_co_u32_e32 v3, vcc, v10, v3, vcc
	flat_load_dwordx4 v[10:13], v[2:3]
	s_load_dwordx2 s[0:1], s[0:1], 0x0
	v_mul_lo_u32 v5, v5, s24
	v_mul_lo_u32 v14, v4, s25
	v_mad_u64_u32 v[2:3], s[4:5], v4, s24, 0
	v_mul_lo_u32 v4, v1, s26
	v_mul_lo_u32 v15, v0, s27
	v_mad_u64_u32 v[0:1], s[4:5], v0, s26, 0
	s_lshl_b64 s[2:3], s[22:23], 4
	v_add3_u32 v3, v3, v14, v5
	s_waitcnt lgkmcnt(0)
	s_add_u32 s0, s0, s2
	v_lshlrev_b64 v[2:3], 4, v[2:3]
	s_addc_u32 s1, s1, s3
	v_add3_u32 v1, v1, v15, v4
	v_mov_b32_e32 v4, s1
	v_add_co_u32_e32 v2, vcc, s0, v2
	v_lshlrev_b64 v[0:1], 4, v[0:1]
	v_addc_co_u32_e32 v3, vcc, v4, v3, vcc
	v_add_co_u32_e32 v4, vcc, v2, v0
	v_addc_co_u32_e32 v5, vcc, v3, v1, vcc
	flat_load_dwordx4 v[0:3], v[4:5]
	s_mul_i32 s0, s8, s18
	s_ashr_i32 s1, s0, 31
	s_lshl_b64 s[0:1], s[0:1], 4
	s_add_u32 s4, s16, s0
	s_addc_u32 s5, s17, s1
	s_load_dwordx4 s[0:3], s[4:5], 0x0
	s_waitcnt vmcnt(0) lgkmcnt(0)
	v_mul_f64 v[14:15], s[0:1], v[8:9]
	v_mul_f64 v[8:9], s[2:3], v[8:9]
	v_fma_f64 v[14:15], s[2:3], v[6:7], v[14:15]
	v_fma_f64 v[6:7], s[0:1], v[6:7], -v[8:9]
	v_mul_f64 v[8:9], v[12:13], v[14:15]
	v_mul_f64 v[14:15], v[10:11], v[14:15]
	v_fma_f64 v[8:9], v[10:11], v[6:7], -v[8:9]
	v_fma_f64 v[6:7], v[12:13], v[6:7], v[14:15]
	v_add_f64 v[0:1], v[0:1], v[8:9]
	v_add_f64 v[2:3], v[6:7], v[2:3]
	flat_store_dwordx4 v[4:5], v[0:3]
.LBB6_2:
	s_endpgm
	.section	.rodata,"a",@progbits
	.p2align	6, 0x0
	.amdhsa_kernel _ZN9rocsolver6v33100L10ger_kernelI19rocblas_complex_numIdElPKS3_PKPS3_S8_S8_EEvT0_S9_T1_lT2_lS9_lT3_lS9_lT4_lS9_S9_l
		.amdhsa_group_segment_fixed_size 0
		.amdhsa_private_segment_fixed_size 0
		.amdhsa_kernarg_size 392
		.amdhsa_user_sgpr_count 6
		.amdhsa_user_sgpr_private_segment_buffer 1
		.amdhsa_user_sgpr_dispatch_ptr 0
		.amdhsa_user_sgpr_queue_ptr 0
		.amdhsa_user_sgpr_kernarg_segment_ptr 1
		.amdhsa_user_sgpr_dispatch_id 0
		.amdhsa_user_sgpr_flat_scratch_init 0
		.amdhsa_user_sgpr_private_segment_size 0
		.amdhsa_uses_dynamic_stack 0
		.amdhsa_system_sgpr_private_segment_wavefront_offset 0
		.amdhsa_system_sgpr_workgroup_id_x 1
		.amdhsa_system_sgpr_workgroup_id_y 1
		.amdhsa_system_sgpr_workgroup_id_z 1
		.amdhsa_system_sgpr_workgroup_info 0
		.amdhsa_system_vgpr_workitem_id 1
		.amdhsa_next_free_vgpr 16
		.amdhsa_next_free_sgpr 44
		.amdhsa_reserve_vcc 1
		.amdhsa_reserve_flat_scratch 0
		.amdhsa_float_round_mode_32 0
		.amdhsa_float_round_mode_16_64 0
		.amdhsa_float_denorm_mode_32 3
		.amdhsa_float_denorm_mode_16_64 3
		.amdhsa_dx10_clamp 1
		.amdhsa_ieee_mode 1
		.amdhsa_fp16_overflow 0
		.amdhsa_exception_fp_ieee_invalid_op 0
		.amdhsa_exception_fp_denorm_src 0
		.amdhsa_exception_fp_ieee_div_zero 0
		.amdhsa_exception_fp_ieee_overflow 0
		.amdhsa_exception_fp_ieee_underflow 0
		.amdhsa_exception_fp_ieee_inexact 0
		.amdhsa_exception_int_div_zero 0
	.end_amdhsa_kernel
	.section	.text._ZN9rocsolver6v33100L10ger_kernelI19rocblas_complex_numIdElPKS3_PKPS3_S8_S8_EEvT0_S9_T1_lT2_lS9_lT3_lS9_lT4_lS9_S9_l,"axG",@progbits,_ZN9rocsolver6v33100L10ger_kernelI19rocblas_complex_numIdElPKS3_PKPS3_S8_S8_EEvT0_S9_T1_lT2_lS9_lT3_lS9_lT4_lS9_S9_l,comdat
.Lfunc_end6:
	.size	_ZN9rocsolver6v33100L10ger_kernelI19rocblas_complex_numIdElPKS3_PKPS3_S8_S8_EEvT0_S9_T1_lT2_lS9_lT3_lS9_lT4_lS9_S9_l, .Lfunc_end6-_ZN9rocsolver6v33100L10ger_kernelI19rocblas_complex_numIdElPKS3_PKPS3_S8_S8_EEvT0_S9_T1_lT2_lS9_lT3_lS9_lT4_lS9_S9_l
                                        ; -- End function
	.set _ZN9rocsolver6v33100L10ger_kernelI19rocblas_complex_numIdElPKS3_PKPS3_S8_S8_EEvT0_S9_T1_lT2_lS9_lT3_lS9_lT4_lS9_S9_l.num_vgpr, 16
	.set _ZN9rocsolver6v33100L10ger_kernelI19rocblas_complex_numIdElPKS3_PKPS3_S8_S8_EEvT0_S9_T1_lT2_lS9_lT3_lS9_lT4_lS9_S9_l.num_agpr, 0
	.set _ZN9rocsolver6v33100L10ger_kernelI19rocblas_complex_numIdElPKS3_PKPS3_S8_S8_EEvT0_S9_T1_lT2_lS9_lT3_lS9_lT4_lS9_S9_l.numbered_sgpr, 44
	.set _ZN9rocsolver6v33100L10ger_kernelI19rocblas_complex_numIdElPKS3_PKPS3_S8_S8_EEvT0_S9_T1_lT2_lS9_lT3_lS9_lT4_lS9_S9_l.num_named_barrier, 0
	.set _ZN9rocsolver6v33100L10ger_kernelI19rocblas_complex_numIdElPKS3_PKPS3_S8_S8_EEvT0_S9_T1_lT2_lS9_lT3_lS9_lT4_lS9_S9_l.private_seg_size, 0
	.set _ZN9rocsolver6v33100L10ger_kernelI19rocblas_complex_numIdElPKS3_PKPS3_S8_S8_EEvT0_S9_T1_lT2_lS9_lT3_lS9_lT4_lS9_S9_l.uses_vcc, 1
	.set _ZN9rocsolver6v33100L10ger_kernelI19rocblas_complex_numIdElPKS3_PKPS3_S8_S8_EEvT0_S9_T1_lT2_lS9_lT3_lS9_lT4_lS9_S9_l.uses_flat_scratch, 0
	.set _ZN9rocsolver6v33100L10ger_kernelI19rocblas_complex_numIdElPKS3_PKPS3_S8_S8_EEvT0_S9_T1_lT2_lS9_lT3_lS9_lT4_lS9_S9_l.has_dyn_sized_stack, 0
	.set _ZN9rocsolver6v33100L10ger_kernelI19rocblas_complex_numIdElPKS3_PKPS3_S8_S8_EEvT0_S9_T1_lT2_lS9_lT3_lS9_lT4_lS9_S9_l.has_recursion, 0
	.set _ZN9rocsolver6v33100L10ger_kernelI19rocblas_complex_numIdElPKS3_PKPS3_S8_S8_EEvT0_S9_T1_lT2_lS9_lT3_lS9_lT4_lS9_S9_l.has_indirect_call, 0
	.section	.AMDGPU.csdata,"",@progbits
; Kernel info:
; codeLenInByte = 584
; TotalNumSgprs: 48
; NumVgprs: 16
; ScratchSize: 0
; MemoryBound: 0
; FloatMode: 240
; IeeeMode: 1
; LDSByteSize: 0 bytes/workgroup (compile time only)
; SGPRBlocks: 5
; VGPRBlocks: 3
; NumSGPRsForWavesPerEU: 48
; NumVGPRsForWavesPerEU: 16
; Occupancy: 10
; WaveLimiterHint : 1
; COMPUTE_PGM_RSRC2:SCRATCH_EN: 0
; COMPUTE_PGM_RSRC2:USER_SGPR: 6
; COMPUTE_PGM_RSRC2:TRAP_HANDLER: 0
; COMPUTE_PGM_RSRC2:TGID_X_EN: 1
; COMPUTE_PGM_RSRC2:TGID_Y_EN: 1
; COMPUTE_PGM_RSRC2:TGID_Z_EN: 1
; COMPUTE_PGM_RSRC2:TIDIG_COMP_CNT: 1
	.section	.text._ZN9rocsolver6v33100L10ger_kernelI19rocblas_complex_numIdElS3_PKPS3_S6_S6_EEvT0_S7_T1_lT2_lS7_lT3_lS7_lT4_lS7_S7_l,"axG",@progbits,_ZN9rocsolver6v33100L10ger_kernelI19rocblas_complex_numIdElS3_PKPS3_S6_S6_EEvT0_S7_T1_lT2_lS7_lT3_lS7_lT4_lS7_S7_l,comdat
	.globl	_ZN9rocsolver6v33100L10ger_kernelI19rocblas_complex_numIdElS3_PKPS3_S6_S6_EEvT0_S7_T1_lT2_lS7_lT3_lS7_lT4_lS7_S7_l ; -- Begin function _ZN9rocsolver6v33100L10ger_kernelI19rocblas_complex_numIdElS3_PKPS3_S6_S6_EEvT0_S7_T1_lT2_lS7_lT3_lS7_lT4_lS7_S7_l
	.p2align	8
	.type	_ZN9rocsolver6v33100L10ger_kernelI19rocblas_complex_numIdElS3_PKPS3_S6_S6_EEvT0_S7_T1_lT2_lS7_lT3_lS7_lT4_lS7_S7_l,@function
_ZN9rocsolver6v33100L10ger_kernelI19rocblas_complex_numIdElS3_PKPS3_S6_S6_EEvT0_S7_T1_lT2_lS7_lT3_lS7_lT4_lS7_S7_l: ; @_ZN9rocsolver6v33100L10ger_kernelI19rocblas_complex_numIdElS3_PKPS3_S6_S6_EEvT0_S7_T1_lT2_lS7_lT3_lS7_lT4_lS7_S7_l
; %bb.0:
	s_load_dword s9, s[4:5], 0x9c
	s_load_dwordx4 s[0:3], s[4:5], 0x0
	v_mov_b32_e32 v2, v0
	v_mov_b32_e32 v3, 0
	;; [unrolled: 1-line block ×3, first 2 shown]
	s_waitcnt lgkmcnt(0)
	s_lshr_b32 s12, s9, 16
	s_and_b32 s9, s9, 0xffff
	v_mad_u64_u32 v[4:5], s[10:11], s9, v0, v[2:3]
	v_mov_b32_e32 v2, v3
	v_mov_b32_e32 v0, s7
	v_mad_u64_u32 v[0:1], s[6:7], s12, v0, v[1:2]
	v_cmp_gt_i64_e32 vcc, s[0:1], v[4:5]
	v_cmp_gt_i64_e64 s[0:1], s[2:3], v[0:1]
	s_and_b64 s[0:1], vcc, s[0:1]
	s_and_saveexec_b64 s[2:3], s[0:1]
	s_cbranch_execz .LBB7_2
; %bb.1:
	s_load_dwordx4 s[16:19], s[4:5], 0x48
	s_load_dwordx2 s[6:7], s[4:5], 0x38
	s_load_dwordx4 s[0:3], s[4:5], 0x28
	s_mov_b32 s9, 0
	s_lshl_b64 s[20:21], s[8:9], 3
	s_waitcnt lgkmcnt(0)
	s_add_u32 s16, s16, s20
	s_addc_u32 s17, s17, s21
	s_load_dwordx2 s[22:23], s[16:17], 0x0
	s_load_dwordx2 s[24:25], s[4:5], 0x58
	s_load_dwordx8 s[8:15], s[4:5], 0x68
	s_lshl_b64 s[16:17], s[18:19], 4
	v_mul_lo_u32 v6, v5, s6
	s_waitcnt lgkmcnt(0)
	s_add_u32 s16, s22, s16
	s_addc_u32 s17, s23, s17
	s_add_u32 s0, s0, s20
	s_addc_u32 s1, s1, s21
	s_load_dwordx2 s[0:1], s[0:1], 0x0
	v_mul_lo_u32 v7, v4, s7
	v_mad_u64_u32 v[2:3], s[6:7], v4, s6, 0
	s_lshl_b64 s[2:3], s[2:3], 4
	s_waitcnt lgkmcnt(0)
	s_add_u32 s18, s0, s2
	v_add3_u32 v3, v3, v7, v6
	v_lshlrev_b64 v[2:3], 4, v[2:3]
	s_addc_u32 s6, s1, s3
	v_mov_b32_e32 v6, s6
	v_add_co_u32_e32 v2, vcc, s18, v2
	v_addc_co_u32_e32 v3, vcc, v6, v3, vcc
	flat_load_dwordx4 v[6:9], v[2:3]
	v_mul_lo_u32 v12, v1, s24
	v_mul_lo_u32 v13, v0, s25
	v_mad_u64_u32 v[10:11], s[6:7], v0, s24, 0
	s_add_u32 s0, s8, s20
	s_addc_u32 s1, s9, s21
	v_add3_u32 v11, v11, v13, v12
	v_lshlrev_b64 v[2:3], 4, v[10:11]
	v_mov_b32_e32 v10, s17
	v_add_co_u32_e32 v2, vcc, s16, v2
	v_addc_co_u32_e32 v3, vcc, v10, v3, vcc
	flat_load_dwordx4 v[10:13], v[2:3]
	s_load_dwordx2 s[0:1], s[0:1], 0x0
	v_mul_lo_u32 v5, v5, s12
	v_mul_lo_u32 v14, v4, s13
	v_mad_u64_u32 v[2:3], s[6:7], v4, s12, 0
	v_mul_lo_u32 v4, v1, s14
	v_mul_lo_u32 v15, v0, s15
	v_mad_u64_u32 v[0:1], s[6:7], v0, s14, 0
	s_lshl_b64 s[2:3], s[10:11], 4
	v_add3_u32 v3, v3, v14, v5
	s_waitcnt lgkmcnt(0)
	s_add_u32 s0, s0, s2
	v_lshlrev_b64 v[2:3], 4, v[2:3]
	s_addc_u32 s1, s1, s3
	v_add3_u32 v1, v1, v15, v4
	v_mov_b32_e32 v4, s1
	v_add_co_u32_e32 v2, vcc, s0, v2
	v_lshlrev_b64 v[0:1], 4, v[0:1]
	v_addc_co_u32_e32 v3, vcc, v4, v3, vcc
	v_add_co_u32_e32 v4, vcc, v2, v0
	v_addc_co_u32_e32 v5, vcc, v3, v1, vcc
	flat_load_dwordx4 v[0:3], v[4:5]
	s_load_dwordx4 s[0:3], s[4:5], 0x10
	s_waitcnt vmcnt(0) lgkmcnt(0)
	v_mul_f64 v[14:15], s[0:1], v[8:9]
	v_mul_f64 v[8:9], s[2:3], v[8:9]
	v_fma_f64 v[14:15], s[2:3], v[6:7], v[14:15]
	v_fma_f64 v[6:7], s[0:1], v[6:7], -v[8:9]
	v_mul_f64 v[8:9], v[12:13], v[14:15]
	v_mul_f64 v[14:15], v[10:11], v[14:15]
	v_fma_f64 v[8:9], v[10:11], v[6:7], -v[8:9]
	v_fma_f64 v[6:7], v[12:13], v[6:7], v[14:15]
	v_add_f64 v[0:1], v[0:1], v[8:9]
	v_add_f64 v[2:3], v[6:7], v[2:3]
	flat_store_dwordx4 v[4:5], v[0:3]
.LBB7_2:
	s_endpgm
	.section	.rodata,"a",@progbits
	.p2align	6, 0x0
	.amdhsa_kernel _ZN9rocsolver6v33100L10ger_kernelI19rocblas_complex_numIdElS3_PKPS3_S6_S6_EEvT0_S7_T1_lT2_lS7_lT3_lS7_lT4_lS7_S7_l
		.amdhsa_group_segment_fixed_size 0
		.amdhsa_private_segment_fixed_size 0
		.amdhsa_kernarg_size 400
		.amdhsa_user_sgpr_count 6
		.amdhsa_user_sgpr_private_segment_buffer 1
		.amdhsa_user_sgpr_dispatch_ptr 0
		.amdhsa_user_sgpr_queue_ptr 0
		.amdhsa_user_sgpr_kernarg_segment_ptr 1
		.amdhsa_user_sgpr_dispatch_id 0
		.amdhsa_user_sgpr_flat_scratch_init 0
		.amdhsa_user_sgpr_private_segment_size 0
		.amdhsa_uses_dynamic_stack 0
		.amdhsa_system_sgpr_private_segment_wavefront_offset 0
		.amdhsa_system_sgpr_workgroup_id_x 1
		.amdhsa_system_sgpr_workgroup_id_y 1
		.amdhsa_system_sgpr_workgroup_id_z 1
		.amdhsa_system_sgpr_workgroup_info 0
		.amdhsa_system_vgpr_workitem_id 1
		.amdhsa_next_free_vgpr 16
		.amdhsa_next_free_sgpr 26
		.amdhsa_reserve_vcc 1
		.amdhsa_reserve_flat_scratch 0
		.amdhsa_float_round_mode_32 0
		.amdhsa_float_round_mode_16_64 0
		.amdhsa_float_denorm_mode_32 3
		.amdhsa_float_denorm_mode_16_64 3
		.amdhsa_dx10_clamp 1
		.amdhsa_ieee_mode 1
		.amdhsa_fp16_overflow 0
		.amdhsa_exception_fp_ieee_invalid_op 0
		.amdhsa_exception_fp_denorm_src 0
		.amdhsa_exception_fp_ieee_div_zero 0
		.amdhsa_exception_fp_ieee_overflow 0
		.amdhsa_exception_fp_ieee_underflow 0
		.amdhsa_exception_fp_ieee_inexact 0
		.amdhsa_exception_int_div_zero 0
	.end_amdhsa_kernel
	.section	.text._ZN9rocsolver6v33100L10ger_kernelI19rocblas_complex_numIdElS3_PKPS3_S6_S6_EEvT0_S7_T1_lT2_lS7_lT3_lS7_lT4_lS7_S7_l,"axG",@progbits,_ZN9rocsolver6v33100L10ger_kernelI19rocblas_complex_numIdElS3_PKPS3_S6_S6_EEvT0_S7_T1_lT2_lS7_lT3_lS7_lT4_lS7_S7_l,comdat
.Lfunc_end7:
	.size	_ZN9rocsolver6v33100L10ger_kernelI19rocblas_complex_numIdElS3_PKPS3_S6_S6_EEvT0_S7_T1_lT2_lS7_lT3_lS7_lT4_lS7_S7_l, .Lfunc_end7-_ZN9rocsolver6v33100L10ger_kernelI19rocblas_complex_numIdElS3_PKPS3_S6_S6_EEvT0_S7_T1_lT2_lS7_lT3_lS7_lT4_lS7_S7_l
                                        ; -- End function
	.set _ZN9rocsolver6v33100L10ger_kernelI19rocblas_complex_numIdElS3_PKPS3_S6_S6_EEvT0_S7_T1_lT2_lS7_lT3_lS7_lT4_lS7_S7_l.num_vgpr, 16
	.set _ZN9rocsolver6v33100L10ger_kernelI19rocblas_complex_numIdElS3_PKPS3_S6_S6_EEvT0_S7_T1_lT2_lS7_lT3_lS7_lT4_lS7_S7_l.num_agpr, 0
	.set _ZN9rocsolver6v33100L10ger_kernelI19rocblas_complex_numIdElS3_PKPS3_S6_S6_EEvT0_S7_T1_lT2_lS7_lT3_lS7_lT4_lS7_S7_l.numbered_sgpr, 26
	.set _ZN9rocsolver6v33100L10ger_kernelI19rocblas_complex_numIdElS3_PKPS3_S6_S6_EEvT0_S7_T1_lT2_lS7_lT3_lS7_lT4_lS7_S7_l.num_named_barrier, 0
	.set _ZN9rocsolver6v33100L10ger_kernelI19rocblas_complex_numIdElS3_PKPS3_S6_S6_EEvT0_S7_T1_lT2_lS7_lT3_lS7_lT4_lS7_S7_l.private_seg_size, 0
	.set _ZN9rocsolver6v33100L10ger_kernelI19rocblas_complex_numIdElS3_PKPS3_S6_S6_EEvT0_S7_T1_lT2_lS7_lT3_lS7_lT4_lS7_S7_l.uses_vcc, 1
	.set _ZN9rocsolver6v33100L10ger_kernelI19rocblas_complex_numIdElS3_PKPS3_S6_S6_EEvT0_S7_T1_lT2_lS7_lT3_lS7_lT4_lS7_S7_l.uses_flat_scratch, 0
	.set _ZN9rocsolver6v33100L10ger_kernelI19rocblas_complex_numIdElS3_PKPS3_S6_S6_EEvT0_S7_T1_lT2_lS7_lT3_lS7_lT4_lS7_S7_l.has_dyn_sized_stack, 0
	.set _ZN9rocsolver6v33100L10ger_kernelI19rocblas_complex_numIdElS3_PKPS3_S6_S6_EEvT0_S7_T1_lT2_lS7_lT3_lS7_lT4_lS7_S7_l.has_recursion, 0
	.set _ZN9rocsolver6v33100L10ger_kernelI19rocblas_complex_numIdElS3_PKPS3_S6_S6_EEvT0_S7_T1_lT2_lS7_lT3_lS7_lT4_lS7_S7_l.has_indirect_call, 0
	.section	.AMDGPU.csdata,"",@progbits
; Kernel info:
; codeLenInByte = 572
; TotalNumSgprs: 30
; NumVgprs: 16
; ScratchSize: 0
; MemoryBound: 0
; FloatMode: 240
; IeeeMode: 1
; LDSByteSize: 0 bytes/workgroup (compile time only)
; SGPRBlocks: 3
; VGPRBlocks: 3
; NumSGPRsForWavesPerEU: 30
; NumVGPRsForWavesPerEU: 16
; Occupancy: 10
; WaveLimiterHint : 1
; COMPUTE_PGM_RSRC2:SCRATCH_EN: 0
; COMPUTE_PGM_RSRC2:USER_SGPR: 6
; COMPUTE_PGM_RSRC2:TRAP_HANDLER: 0
; COMPUTE_PGM_RSRC2:TGID_X_EN: 1
; COMPUTE_PGM_RSRC2:TGID_Y_EN: 1
; COMPUTE_PGM_RSRC2:TGID_Z_EN: 1
; COMPUTE_PGM_RSRC2:TIDIG_COMP_CNT: 1
	.section	.AMDGPU.gpr_maximums,"",@progbits
	.set amdgpu.max_num_vgpr, 0
	.set amdgpu.max_num_agpr, 0
	.set amdgpu.max_num_sgpr, 0
	.section	.AMDGPU.csdata,"",@progbits
	.type	__hip_cuid_b66c00d2642fee58,@object ; @__hip_cuid_b66c00d2642fee58
	.section	.bss,"aw",@nobits
	.globl	__hip_cuid_b66c00d2642fee58
__hip_cuid_b66c00d2642fee58:
	.byte	0                               ; 0x0
	.size	__hip_cuid_b66c00d2642fee58, 1

	.ident	"AMD clang version 22.0.0git (https://github.com/RadeonOpenCompute/llvm-project roc-7.2.4 26084 f58b06dce1f9c15707c5f808fd002e18c2accf7e)"
	.section	".note.GNU-stack","",@progbits
	.addrsig
	.addrsig_sym __hip_cuid_b66c00d2642fee58
	.amdgpu_metadata
---
amdhsa.kernels:
  - .args:
      - .offset:         0
        .size:           4
        .value_kind:     by_value
      - .offset:         4
        .size:           4
        .value_kind:     by_value
      - .address_space:  global
        .offset:         8
        .size:           8
        .value_kind:     global_buffer
      - .offset:         16
        .size:           8
        .value_kind:     by_value
      - .address_space:  global
        .offset:         24
        .size:           8
        .value_kind:     global_buffer
      - .offset:         32
        .size:           8
        .value_kind:     by_value
      - .offset:         40
        .size:           4
        .value_kind:     by_value
      - .offset:         48
        .size:           8
        .value_kind:     by_value
      - .address_space:  global
        .offset:         56
        .size:           8
        .value_kind:     global_buffer
      - .offset:         64
        .size:           8
        .value_kind:     by_value
      - .offset:         72
        .size:           4
        .value_kind:     by_value
      - .offset:         80
        .size:           8
        .value_kind:     by_value
      - .address_space:  global
        .offset:         88
        .size:           8
        .value_kind:     global_buffer
      - .offset:         96
        .size:           8
        .value_kind:     by_value
      - .offset:         104
        .size:           4
        .value_kind:     by_value
      - .offset:         108
        .size:           4
        .value_kind:     by_value
      - .offset:         112
        .size:           8
        .value_kind:     by_value
      - .offset:         120
        .size:           4
        .value_kind:     hidden_block_count_x
      - .offset:         124
        .size:           4
        .value_kind:     hidden_block_count_y
      - .offset:         128
        .size:           4
        .value_kind:     hidden_block_count_z
      - .offset:         132
        .size:           2
        .value_kind:     hidden_group_size_x
      - .offset:         134
        .size:           2
        .value_kind:     hidden_group_size_y
      - .offset:         136
        .size:           2
        .value_kind:     hidden_group_size_z
      - .offset:         138
        .size:           2
        .value_kind:     hidden_remainder_x
      - .offset:         140
        .size:           2
        .value_kind:     hidden_remainder_y
      - .offset:         142
        .size:           2
        .value_kind:     hidden_remainder_z
      - .offset:         160
        .size:           8
        .value_kind:     hidden_global_offset_x
      - .offset:         168
        .size:           8
        .value_kind:     hidden_global_offset_y
      - .offset:         176
        .size:           8
        .value_kind:     hidden_global_offset_z
      - .offset:         184
        .size:           2
        .value_kind:     hidden_grid_dims
    .group_segment_fixed_size: 0
    .kernarg_segment_align: 8
    .kernarg_segment_size: 376
    .language:       OpenCL C
    .language_version:
      - 2
      - 0
    .max_flat_workgroup_size: 1024
    .name:           _ZN9rocsolver6v33100L10ger_kernelI19rocblas_complex_numIdEiPKS3_PS3_S6_S6_EEvT0_S7_T1_lT2_lS7_lT3_lS7_lT4_lS7_S7_l
    .private_segment_fixed_size: 0
    .sgpr_count:     33
    .sgpr_spill_count: 0
    .symbol:         _ZN9rocsolver6v33100L10ger_kernelI19rocblas_complex_numIdEiPKS3_PS3_S6_S6_EEvT0_S7_T1_lT2_lS7_lT3_lS7_lT4_lS7_S7_l.kd
    .uniform_work_group_size: 1
    .uses_dynamic_stack: false
    .vgpr_count:     17
    .vgpr_spill_count: 0
    .wavefront_size: 64
  - .args:
      - .offset:         0
        .size:           4
        .value_kind:     by_value
      - .offset:         4
        .size:           4
        .value_kind:     by_value
      - .offset:         8
        .size:           16
        .value_kind:     by_value
      - .offset:         24
        .size:           8
        .value_kind:     by_value
      - .address_space:  global
        .offset:         32
        .size:           8
        .value_kind:     global_buffer
      - .offset:         40
        .size:           8
        .value_kind:     by_value
      - .offset:         48
        .size:           4
        .value_kind:     by_value
      - .offset:         56
        .size:           8
        .value_kind:     by_value
      - .address_space:  global
        .offset:         64
        .size:           8
        .value_kind:     global_buffer
      - .offset:         72
        .size:           8
        .value_kind:     by_value
      - .offset:         80
        .size:           4
        .value_kind:     by_value
      - .offset:         88
        .size:           8
        .value_kind:     by_value
      - .address_space:  global
        .offset:         96
        .size:           8
        .value_kind:     global_buffer
      - .offset:         104
        .size:           8
        .value_kind:     by_value
      - .offset:         112
        .size:           4
        .value_kind:     by_value
      - .offset:         116
        .size:           4
        .value_kind:     by_value
      - .offset:         120
        .size:           8
        .value_kind:     by_value
      - .offset:         128
        .size:           4
        .value_kind:     hidden_block_count_x
      - .offset:         132
        .size:           4
        .value_kind:     hidden_block_count_y
      - .offset:         136
        .size:           4
        .value_kind:     hidden_block_count_z
      - .offset:         140
        .size:           2
        .value_kind:     hidden_group_size_x
      - .offset:         142
        .size:           2
        .value_kind:     hidden_group_size_y
      - .offset:         144
        .size:           2
        .value_kind:     hidden_group_size_z
      - .offset:         146
        .size:           2
        .value_kind:     hidden_remainder_x
      - .offset:         148
        .size:           2
        .value_kind:     hidden_remainder_y
      - .offset:         150
        .size:           2
        .value_kind:     hidden_remainder_z
      - .offset:         168
        .size:           8
        .value_kind:     hidden_global_offset_x
      - .offset:         176
        .size:           8
        .value_kind:     hidden_global_offset_y
      - .offset:         184
        .size:           8
        .value_kind:     hidden_global_offset_z
      - .offset:         192
        .size:           2
        .value_kind:     hidden_grid_dims
    .group_segment_fixed_size: 0
    .kernarg_segment_align: 8
    .kernarg_segment_size: 384
    .language:       OpenCL C
    .language_version:
      - 2
      - 0
    .max_flat_workgroup_size: 1024
    .name:           _ZN9rocsolver6v33100L10ger_kernelI19rocblas_complex_numIdEiS3_PS3_S4_S4_EEvT0_S5_T1_lT2_lS5_lT3_lS5_lT4_lS5_S5_l
    .private_segment_fixed_size: 0
    .sgpr_count:     32
    .sgpr_spill_count: 0
    .symbol:         _ZN9rocsolver6v33100L10ger_kernelI19rocblas_complex_numIdEiS3_PS3_S4_S4_EEvT0_S5_T1_lT2_lS5_lT3_lS5_lT4_lS5_S5_l.kd
    .uniform_work_group_size: 1
    .uses_dynamic_stack: false
    .vgpr_count:     17
    .vgpr_spill_count: 0
    .wavefront_size: 64
  - .args:
      - .offset:         0
        .size:           4
        .value_kind:     by_value
      - .offset:         4
        .size:           4
        .value_kind:     by_value
      - .address_space:  global
        .offset:         8
        .size:           8
        .value_kind:     global_buffer
      - .offset:         16
        .size:           8
        .value_kind:     by_value
      - .address_space:  global
        .offset:         24
        .size:           8
        .value_kind:     global_buffer
      - .offset:         32
        .size:           8
        .value_kind:     by_value
      - .offset:         40
        .size:           4
        .value_kind:     by_value
      - .offset:         48
        .size:           8
        .value_kind:     by_value
      - .address_space:  global
        .offset:         56
        .size:           8
        .value_kind:     global_buffer
      - .offset:         64
        .size:           8
        .value_kind:     by_value
      - .offset:         72
        .size:           4
        .value_kind:     by_value
      - .offset:         80
        .size:           8
        .value_kind:     by_value
      - .address_space:  global
        .offset:         88
        .size:           8
        .value_kind:     global_buffer
      - .offset:         96
        .size:           8
        .value_kind:     by_value
      - .offset:         104
        .size:           4
        .value_kind:     by_value
      - .offset:         108
        .size:           4
        .value_kind:     by_value
      - .offset:         112
        .size:           8
        .value_kind:     by_value
      - .offset:         120
        .size:           4
        .value_kind:     hidden_block_count_x
      - .offset:         124
        .size:           4
        .value_kind:     hidden_block_count_y
      - .offset:         128
        .size:           4
        .value_kind:     hidden_block_count_z
      - .offset:         132
        .size:           2
        .value_kind:     hidden_group_size_x
      - .offset:         134
        .size:           2
        .value_kind:     hidden_group_size_y
      - .offset:         136
        .size:           2
        .value_kind:     hidden_group_size_z
      - .offset:         138
        .size:           2
        .value_kind:     hidden_remainder_x
      - .offset:         140
        .size:           2
        .value_kind:     hidden_remainder_y
      - .offset:         142
        .size:           2
        .value_kind:     hidden_remainder_z
      - .offset:         160
        .size:           8
        .value_kind:     hidden_global_offset_x
      - .offset:         168
        .size:           8
        .value_kind:     hidden_global_offset_y
      - .offset:         176
        .size:           8
        .value_kind:     hidden_global_offset_z
      - .offset:         184
        .size:           2
        .value_kind:     hidden_grid_dims
    .group_segment_fixed_size: 0
    .kernarg_segment_align: 8
    .kernarg_segment_size: 376
    .language:       OpenCL C
    .language_version:
      - 2
      - 0
    .max_flat_workgroup_size: 1024
    .name:           _ZN9rocsolver6v33100L10ger_kernelI19rocblas_complex_numIdEiPKS3_PKPS3_S8_S8_EEvT0_S9_T1_lT2_lS9_lT3_lS9_lT4_lS9_S9_l
    .private_segment_fixed_size: 0
    .sgpr_count:     26
    .sgpr_spill_count: 0
    .symbol:         _ZN9rocsolver6v33100L10ger_kernelI19rocblas_complex_numIdEiPKS3_PKPS3_S8_S8_EEvT0_S9_T1_lT2_lS9_lT3_lS9_lT4_lS9_S9_l.kd
    .uniform_work_group_size: 1
    .uses_dynamic_stack: false
    .vgpr_count:     17
    .vgpr_spill_count: 0
    .wavefront_size: 64
  - .args:
      - .offset:         0
        .size:           4
        .value_kind:     by_value
      - .offset:         4
        .size:           4
        .value_kind:     by_value
      - .offset:         8
        .size:           16
        .value_kind:     by_value
      - .offset:         24
        .size:           8
        .value_kind:     by_value
      - .address_space:  global
        .offset:         32
        .size:           8
        .value_kind:     global_buffer
      - .offset:         40
        .size:           8
        .value_kind:     by_value
      - .offset:         48
        .size:           4
        .value_kind:     by_value
      - .offset:         56
        .size:           8
        .value_kind:     by_value
      - .address_space:  global
        .offset:         64
        .size:           8
        .value_kind:     global_buffer
      - .offset:         72
        .size:           8
        .value_kind:     by_value
      - .offset:         80
        .size:           4
        .value_kind:     by_value
      - .offset:         88
        .size:           8
        .value_kind:     by_value
      - .address_space:  global
        .offset:         96
        .size:           8
        .value_kind:     global_buffer
      - .offset:         104
        .size:           8
        .value_kind:     by_value
      - .offset:         112
        .size:           4
        .value_kind:     by_value
      - .offset:         116
        .size:           4
        .value_kind:     by_value
      - .offset:         120
        .size:           8
        .value_kind:     by_value
      - .offset:         128
        .size:           4
        .value_kind:     hidden_block_count_x
      - .offset:         132
        .size:           4
        .value_kind:     hidden_block_count_y
      - .offset:         136
        .size:           4
        .value_kind:     hidden_block_count_z
      - .offset:         140
        .size:           2
        .value_kind:     hidden_group_size_x
      - .offset:         142
        .size:           2
        .value_kind:     hidden_group_size_y
      - .offset:         144
        .size:           2
        .value_kind:     hidden_group_size_z
      - .offset:         146
        .size:           2
        .value_kind:     hidden_remainder_x
      - .offset:         148
        .size:           2
        .value_kind:     hidden_remainder_y
      - .offset:         150
        .size:           2
        .value_kind:     hidden_remainder_z
      - .offset:         168
        .size:           8
        .value_kind:     hidden_global_offset_x
      - .offset:         176
        .size:           8
        .value_kind:     hidden_global_offset_y
      - .offset:         184
        .size:           8
        .value_kind:     hidden_global_offset_z
      - .offset:         192
        .size:           2
        .value_kind:     hidden_grid_dims
    .group_segment_fixed_size: 0
    .kernarg_segment_align: 8
    .kernarg_segment_size: 384
    .language:       OpenCL C
    .language_version:
      - 2
      - 0
    .max_flat_workgroup_size: 1024
    .name:           _ZN9rocsolver6v33100L10ger_kernelI19rocblas_complex_numIdEiS3_PKPS3_S6_S6_EEvT0_S7_T1_lT2_lS7_lT3_lS7_lT4_lS7_S7_l
    .private_segment_fixed_size: 0
    .sgpr_count:     20
    .sgpr_spill_count: 0
    .symbol:         _ZN9rocsolver6v33100L10ger_kernelI19rocblas_complex_numIdEiS3_PKPS3_S6_S6_EEvT0_S7_T1_lT2_lS7_lT3_lS7_lT4_lS7_S7_l.kd
    .uniform_work_group_size: 1
    .uses_dynamic_stack: false
    .vgpr_count:     17
    .vgpr_spill_count: 0
    .wavefront_size: 64
  - .args:
      - .offset:         0
        .size:           8
        .value_kind:     by_value
      - .offset:         8
        .size:           8
        .value_kind:     by_value
      - .address_space:  global
        .offset:         16
        .size:           8
        .value_kind:     global_buffer
      - .offset:         24
        .size:           8
        .value_kind:     by_value
      - .address_space:  global
        .offset:         32
        .size:           8
        .value_kind:     global_buffer
      - .offset:         40
        .size:           8
        .value_kind:     by_value
      - .offset:         48
        .size:           8
        .value_kind:     by_value
      - .offset:         56
        .size:           8
        .value_kind:     by_value
      - .address_space:  global
        .offset:         64
        .size:           8
        .value_kind:     global_buffer
      - .offset:         72
        .size:           8
        .value_kind:     by_value
      - .offset:         80
        .size:           8
        .value_kind:     by_value
      - .offset:         88
        .size:           8
        .value_kind:     by_value
      - .address_space:  global
        .offset:         96
        .size:           8
        .value_kind:     global_buffer
      - .offset:         104
        .size:           8
        .value_kind:     by_value
      - .offset:         112
        .size:           8
        .value_kind:     by_value
      - .offset:         120
        .size:           8
        .value_kind:     by_value
      - .offset:         128
        .size:           8
        .value_kind:     by_value
      - .offset:         136
        .size:           4
        .value_kind:     hidden_block_count_x
      - .offset:         140
        .size:           4
        .value_kind:     hidden_block_count_y
      - .offset:         144
        .size:           4
        .value_kind:     hidden_block_count_z
      - .offset:         148
        .size:           2
        .value_kind:     hidden_group_size_x
      - .offset:         150
        .size:           2
        .value_kind:     hidden_group_size_y
      - .offset:         152
        .size:           2
        .value_kind:     hidden_group_size_z
      - .offset:         154
        .size:           2
        .value_kind:     hidden_remainder_x
      - .offset:         156
        .size:           2
        .value_kind:     hidden_remainder_y
      - .offset:         158
        .size:           2
        .value_kind:     hidden_remainder_z
      - .offset:         176
        .size:           8
        .value_kind:     hidden_global_offset_x
      - .offset:         184
        .size:           8
        .value_kind:     hidden_global_offset_y
      - .offset:         192
        .size:           8
        .value_kind:     hidden_global_offset_z
      - .offset:         200
        .size:           2
        .value_kind:     hidden_grid_dims
    .group_segment_fixed_size: 0
    .kernarg_segment_align: 8
    .kernarg_segment_size: 392
    .language:       OpenCL C
    .language_version:
      - 2
      - 0
    .max_flat_workgroup_size: 1024
    .name:           _ZN9rocsolver6v33100L10ger_kernelI19rocblas_complex_numIdElPKS3_PS3_S6_S6_EEvT0_S7_T1_lT2_lS7_lT3_lS7_lT4_lS7_S7_l
    .private_segment_fixed_size: 0
    .sgpr_count:     56
    .sgpr_spill_count: 0
    .symbol:         _ZN9rocsolver6v33100L10ger_kernelI19rocblas_complex_numIdElPKS3_PS3_S6_S6_EEvT0_S7_T1_lT2_lS7_lT3_lS7_lT4_lS7_S7_l.kd
    .uniform_work_group_size: 1
    .uses_dynamic_stack: false
    .vgpr_count:     16
    .vgpr_spill_count: 0
    .wavefront_size: 64
  - .args:
      - .offset:         0
        .size:           8
        .value_kind:     by_value
      - .offset:         8
        .size:           8
        .value_kind:     by_value
      - .offset:         16
        .size:           16
        .value_kind:     by_value
      - .offset:         32
        .size:           8
        .value_kind:     by_value
      - .address_space:  global
        .offset:         40
        .size:           8
        .value_kind:     global_buffer
      - .offset:         48
        .size:           8
        .value_kind:     by_value
      - .offset:         56
        .size:           8
        .value_kind:     by_value
      - .offset:         64
        .size:           8
        .value_kind:     by_value
      - .address_space:  global
        .offset:         72
        .size:           8
        .value_kind:     global_buffer
      - .offset:         80
        .size:           8
        .value_kind:     by_value
      - .offset:         88
        .size:           8
        .value_kind:     by_value
      - .offset:         96
        .size:           8
        .value_kind:     by_value
      - .address_space:  global
        .offset:         104
        .size:           8
        .value_kind:     global_buffer
      - .offset:         112
        .size:           8
        .value_kind:     by_value
      - .offset:         120
        .size:           8
        .value_kind:     by_value
      - .offset:         128
        .size:           8
        .value_kind:     by_value
      - .offset:         136
        .size:           8
        .value_kind:     by_value
      - .offset:         144
        .size:           4
        .value_kind:     hidden_block_count_x
      - .offset:         148
        .size:           4
        .value_kind:     hidden_block_count_y
      - .offset:         152
        .size:           4
        .value_kind:     hidden_block_count_z
      - .offset:         156
        .size:           2
        .value_kind:     hidden_group_size_x
      - .offset:         158
        .size:           2
        .value_kind:     hidden_group_size_y
      - .offset:         160
        .size:           2
        .value_kind:     hidden_group_size_z
      - .offset:         162
        .size:           2
        .value_kind:     hidden_remainder_x
      - .offset:         164
        .size:           2
        .value_kind:     hidden_remainder_y
      - .offset:         166
        .size:           2
        .value_kind:     hidden_remainder_z
      - .offset:         184
        .size:           8
        .value_kind:     hidden_global_offset_x
      - .offset:         192
        .size:           8
        .value_kind:     hidden_global_offset_y
      - .offset:         200
        .size:           8
        .value_kind:     hidden_global_offset_z
      - .offset:         208
        .size:           2
        .value_kind:     hidden_grid_dims
    .group_segment_fixed_size: 0
    .kernarg_segment_align: 8
    .kernarg_segment_size: 400
    .language:       OpenCL C
    .language_version:
      - 2
      - 0
    .max_flat_workgroup_size: 1024
    .name:           _ZN9rocsolver6v33100L10ger_kernelI19rocblas_complex_numIdElS3_PS3_S4_S4_EEvT0_S5_T1_lT2_lS5_lT3_lS5_lT4_lS5_S5_l
    .private_segment_fixed_size: 0
    .sgpr_count:     48
    .sgpr_spill_count: 0
    .symbol:         _ZN9rocsolver6v33100L10ger_kernelI19rocblas_complex_numIdElS3_PS3_S4_S4_EEvT0_S5_T1_lT2_lS5_lT3_lS5_lT4_lS5_S5_l.kd
    .uniform_work_group_size: 1
    .uses_dynamic_stack: false
    .vgpr_count:     16
    .vgpr_spill_count: 0
    .wavefront_size: 64
  - .args:
      - .offset:         0
        .size:           8
        .value_kind:     by_value
      - .offset:         8
        .size:           8
        .value_kind:     by_value
      - .address_space:  global
        .offset:         16
        .size:           8
        .value_kind:     global_buffer
      - .offset:         24
        .size:           8
        .value_kind:     by_value
      - .address_space:  global
        .offset:         32
        .size:           8
        .value_kind:     global_buffer
      - .offset:         40
        .size:           8
        .value_kind:     by_value
      - .offset:         48
        .size:           8
        .value_kind:     by_value
      - .offset:         56
        .size:           8
        .value_kind:     by_value
      - .address_space:  global
        .offset:         64
        .size:           8
        .value_kind:     global_buffer
      - .offset:         72
        .size:           8
        .value_kind:     by_value
      - .offset:         80
        .size:           8
        .value_kind:     by_value
      - .offset:         88
        .size:           8
        .value_kind:     by_value
      - .address_space:  global
        .offset:         96
        .size:           8
        .value_kind:     global_buffer
      - .offset:         104
        .size:           8
        .value_kind:     by_value
      - .offset:         112
        .size:           8
        .value_kind:     by_value
      - .offset:         120
        .size:           8
        .value_kind:     by_value
      - .offset:         128
        .size:           8
        .value_kind:     by_value
      - .offset:         136
        .size:           4
        .value_kind:     hidden_block_count_x
      - .offset:         140
        .size:           4
        .value_kind:     hidden_block_count_y
      - .offset:         144
        .size:           4
        .value_kind:     hidden_block_count_z
      - .offset:         148
        .size:           2
        .value_kind:     hidden_group_size_x
      - .offset:         150
        .size:           2
        .value_kind:     hidden_group_size_y
      - .offset:         152
        .size:           2
        .value_kind:     hidden_group_size_z
      - .offset:         154
        .size:           2
        .value_kind:     hidden_remainder_x
      - .offset:         156
        .size:           2
        .value_kind:     hidden_remainder_y
      - .offset:         158
        .size:           2
        .value_kind:     hidden_remainder_z
      - .offset:         176
        .size:           8
        .value_kind:     hidden_global_offset_x
      - .offset:         184
        .size:           8
        .value_kind:     hidden_global_offset_y
      - .offset:         192
        .size:           8
        .value_kind:     hidden_global_offset_z
      - .offset:         200
        .size:           2
        .value_kind:     hidden_grid_dims
    .group_segment_fixed_size: 0
    .kernarg_segment_align: 8
    .kernarg_segment_size: 392
    .language:       OpenCL C
    .language_version:
      - 2
      - 0
    .max_flat_workgroup_size: 1024
    .name:           _ZN9rocsolver6v33100L10ger_kernelI19rocblas_complex_numIdElPKS3_PKPS3_S8_S8_EEvT0_S9_T1_lT2_lS9_lT3_lS9_lT4_lS9_S9_l
    .private_segment_fixed_size: 0
    .sgpr_count:     48
    .sgpr_spill_count: 0
    .symbol:         _ZN9rocsolver6v33100L10ger_kernelI19rocblas_complex_numIdElPKS3_PKPS3_S8_S8_EEvT0_S9_T1_lT2_lS9_lT3_lS9_lT4_lS9_S9_l.kd
    .uniform_work_group_size: 1
    .uses_dynamic_stack: false
    .vgpr_count:     16
    .vgpr_spill_count: 0
    .wavefront_size: 64
  - .args:
      - .offset:         0
        .size:           8
        .value_kind:     by_value
      - .offset:         8
        .size:           8
        .value_kind:     by_value
      - .offset:         16
        .size:           16
        .value_kind:     by_value
      - .offset:         32
        .size:           8
        .value_kind:     by_value
      - .address_space:  global
        .offset:         40
        .size:           8
        .value_kind:     global_buffer
      - .offset:         48
        .size:           8
        .value_kind:     by_value
      - .offset:         56
        .size:           8
        .value_kind:     by_value
      - .offset:         64
        .size:           8
        .value_kind:     by_value
      - .address_space:  global
        .offset:         72
        .size:           8
        .value_kind:     global_buffer
      - .offset:         80
        .size:           8
        .value_kind:     by_value
      - .offset:         88
        .size:           8
        .value_kind:     by_value
      - .offset:         96
        .size:           8
        .value_kind:     by_value
      - .address_space:  global
        .offset:         104
        .size:           8
        .value_kind:     global_buffer
      - .offset:         112
        .size:           8
        .value_kind:     by_value
      - .offset:         120
        .size:           8
        .value_kind:     by_value
      - .offset:         128
        .size:           8
        .value_kind:     by_value
      - .offset:         136
        .size:           8
        .value_kind:     by_value
      - .offset:         144
        .size:           4
        .value_kind:     hidden_block_count_x
      - .offset:         148
        .size:           4
        .value_kind:     hidden_block_count_y
      - .offset:         152
        .size:           4
        .value_kind:     hidden_block_count_z
      - .offset:         156
        .size:           2
        .value_kind:     hidden_group_size_x
      - .offset:         158
        .size:           2
        .value_kind:     hidden_group_size_y
      - .offset:         160
        .size:           2
        .value_kind:     hidden_group_size_z
      - .offset:         162
        .size:           2
        .value_kind:     hidden_remainder_x
      - .offset:         164
        .size:           2
        .value_kind:     hidden_remainder_y
      - .offset:         166
        .size:           2
        .value_kind:     hidden_remainder_z
      - .offset:         184
        .size:           8
        .value_kind:     hidden_global_offset_x
      - .offset:         192
        .size:           8
        .value_kind:     hidden_global_offset_y
      - .offset:         200
        .size:           8
        .value_kind:     hidden_global_offset_z
      - .offset:         208
        .size:           2
        .value_kind:     hidden_grid_dims
    .group_segment_fixed_size: 0
    .kernarg_segment_align: 8
    .kernarg_segment_size: 400
    .language:       OpenCL C
    .language_version:
      - 2
      - 0
    .max_flat_workgroup_size: 1024
    .name:           _ZN9rocsolver6v33100L10ger_kernelI19rocblas_complex_numIdElS3_PKPS3_S6_S6_EEvT0_S7_T1_lT2_lS7_lT3_lS7_lT4_lS7_S7_l
    .private_segment_fixed_size: 0
    .sgpr_count:     30
    .sgpr_spill_count: 0
    .symbol:         _ZN9rocsolver6v33100L10ger_kernelI19rocblas_complex_numIdElS3_PKPS3_S6_S6_EEvT0_S7_T1_lT2_lS7_lT3_lS7_lT4_lS7_S7_l.kd
    .uniform_work_group_size: 1
    .uses_dynamic_stack: false
    .vgpr_count:     16
    .vgpr_spill_count: 0
    .wavefront_size: 64
amdhsa.target:   amdgcn-amd-amdhsa--gfx906
amdhsa.version:
  - 1
  - 2
...

	.end_amdgpu_metadata
